;; amdgpu-corpus repo=ROCm/rocSOLVER kind=compiled arch=gfx1100 opt=O3
	.text
	.amdgcn_target "amdgcn-amd-amdhsa--gfx1100"
	.amdhsa_code_object_version 6
	.section	.text._ZN9rocsolver6v33100L10reset_infoIiiiEEvPT_T0_T1_S4_,"axG",@progbits,_ZN9rocsolver6v33100L10reset_infoIiiiEEvPT_T0_T1_S4_,comdat
	.globl	_ZN9rocsolver6v33100L10reset_infoIiiiEEvPT_T0_T1_S4_ ; -- Begin function _ZN9rocsolver6v33100L10reset_infoIiiiEEvPT_T0_T1_S4_
	.p2align	8
	.type	_ZN9rocsolver6v33100L10reset_infoIiiiEEvPT_T0_T1_S4_,@function
_ZN9rocsolver6v33100L10reset_infoIiiiEEvPT_T0_T1_S4_: ; @_ZN9rocsolver6v33100L10reset_infoIiiiEEvPT_T0_T1_S4_
; %bb.0:
	s_clause 0x1
	s_load_b32 s2, s[0:1], 0x24
	s_load_b128 s[4:7], s[0:1], 0x8
	s_waitcnt lgkmcnt(0)
	s_and_b32 s2, s2, 0xffff
	s_delay_alu instid0(SALU_CYCLE_1) | instskip(SKIP_1) | instid1(VALU_DEP_1)
	v_mad_u64_u32 v[1:2], null, s15, s2, v[0:1]
	s_mov_b32 s2, exec_lo
	v_cmpx_gt_i32_e64 s4, v1
	s_cbranch_execz .LBB0_2
; %bb.1:
	s_load_b64 s[0:1], s[0:1], 0x0
	v_ashrrev_i32_e32 v2, 31, v1
	s_mov_b32 s2, s5
	s_delay_alu instid0(SALU_CYCLE_1) | instskip(NEXT) | instid1(VALU_DEP_2)
	v_mad_u64_u32 v[4:5], null, v1, s6, s[2:3]
	v_lshlrev_b64 v[2:3], 2, v[1:2]
	s_waitcnt lgkmcnt(0)
	s_delay_alu instid0(VALU_DEP_1) | instskip(NEXT) | instid1(VALU_DEP_2)
	v_add_co_u32 v0, vcc_lo, s0, v2
	v_add_co_ci_u32_e32 v1, vcc_lo, s1, v3, vcc_lo
	global_store_b32 v[0:1], v4, off
.LBB0_2:
	s_nop 0
	s_sendmsg sendmsg(MSG_DEALLOC_VGPRS)
	s_endpgm
	.section	.rodata,"a",@progbits
	.p2align	6, 0x0
	.amdhsa_kernel _ZN9rocsolver6v33100L10reset_infoIiiiEEvPT_T0_T1_S4_
		.amdhsa_group_segment_fixed_size 0
		.amdhsa_private_segment_fixed_size 0
		.amdhsa_kernarg_size 280
		.amdhsa_user_sgpr_count 15
		.amdhsa_user_sgpr_dispatch_ptr 0
		.amdhsa_user_sgpr_queue_ptr 0
		.amdhsa_user_sgpr_kernarg_segment_ptr 1
		.amdhsa_user_sgpr_dispatch_id 0
		.amdhsa_user_sgpr_private_segment_size 0
		.amdhsa_wavefront_size32 1
		.amdhsa_uses_dynamic_stack 0
		.amdhsa_enable_private_segment 0
		.amdhsa_system_sgpr_workgroup_id_x 1
		.amdhsa_system_sgpr_workgroup_id_y 0
		.amdhsa_system_sgpr_workgroup_id_z 0
		.amdhsa_system_sgpr_workgroup_info 0
		.amdhsa_system_vgpr_workitem_id 0
		.amdhsa_next_free_vgpr 6
		.amdhsa_next_free_sgpr 16
		.amdhsa_reserve_vcc 1
		.amdhsa_float_round_mode_32 0
		.amdhsa_float_round_mode_16_64 0
		.amdhsa_float_denorm_mode_32 3
		.amdhsa_float_denorm_mode_16_64 3
		.amdhsa_dx10_clamp 1
		.amdhsa_ieee_mode 1
		.amdhsa_fp16_overflow 0
		.amdhsa_workgroup_processor_mode 1
		.amdhsa_memory_ordered 1
		.amdhsa_forward_progress 0
		.amdhsa_shared_vgpr_count 0
		.amdhsa_exception_fp_ieee_invalid_op 0
		.amdhsa_exception_fp_denorm_src 0
		.amdhsa_exception_fp_ieee_div_zero 0
		.amdhsa_exception_fp_ieee_overflow 0
		.amdhsa_exception_fp_ieee_underflow 0
		.amdhsa_exception_fp_ieee_inexact 0
		.amdhsa_exception_int_div_zero 0
	.end_amdhsa_kernel
	.section	.text._ZN9rocsolver6v33100L10reset_infoIiiiEEvPT_T0_T1_S4_,"axG",@progbits,_ZN9rocsolver6v33100L10reset_infoIiiiEEvPT_T0_T1_S4_,comdat
.Lfunc_end0:
	.size	_ZN9rocsolver6v33100L10reset_infoIiiiEEvPT_T0_T1_S4_, .Lfunc_end0-_ZN9rocsolver6v33100L10reset_infoIiiiEEvPT_T0_T1_S4_
                                        ; -- End function
	.section	.AMDGPU.csdata,"",@progbits
; Kernel info:
; codeLenInByte = 136
; NumSgprs: 18
; NumVgprs: 6
; ScratchSize: 0
; MemoryBound: 0
; FloatMode: 240
; IeeeMode: 1
; LDSByteSize: 0 bytes/workgroup (compile time only)
; SGPRBlocks: 2
; VGPRBlocks: 0
; NumSGPRsForWavesPerEU: 18
; NumVGPRsForWavesPerEU: 6
; Occupancy: 16
; WaveLimiterHint : 0
; COMPUTE_PGM_RSRC2:SCRATCH_EN: 0
; COMPUTE_PGM_RSRC2:USER_SGPR: 15
; COMPUTE_PGM_RSRC2:TRAP_HANDLER: 0
; COMPUTE_PGM_RSRC2:TGID_X_EN: 1
; COMPUTE_PGM_RSRC2:TGID_Y_EN: 0
; COMPUTE_PGM_RSRC2:TGID_Z_EN: 0
; COMPUTE_PGM_RSRC2:TIDIG_COMP_CNT: 0
	.section	.text._ZN9rocsolver6v33100L18stebz_case1_kernelIfPfEEv15rocblas_erange_T_S4_T0_ilPiS6_PS4_lS6_lS6_li,"axG",@progbits,_ZN9rocsolver6v33100L18stebz_case1_kernelIfPfEEv15rocblas_erange_T_S4_T0_ilPiS6_PS4_lS6_lS6_li,comdat
	.globl	_ZN9rocsolver6v33100L18stebz_case1_kernelIfPfEEv15rocblas_erange_T_S4_T0_ilPiS6_PS4_lS6_lS6_li ; -- Begin function _ZN9rocsolver6v33100L18stebz_case1_kernelIfPfEEv15rocblas_erange_T_S4_T0_ilPiS6_PS4_lS6_lS6_li
	.p2align	8
	.type	_ZN9rocsolver6v33100L18stebz_case1_kernelIfPfEEv15rocblas_erange_T_S4_T0_ilPiS6_PS4_lS6_lS6_li,@function
_ZN9rocsolver6v33100L18stebz_case1_kernelIfPfEEv15rocblas_erange_T_S4_T0_ilPiS6_PS4_lS6_lS6_li: ; @_ZN9rocsolver6v33100L18stebz_case1_kernelIfPfEEv15rocblas_erange_T_S4_T0_ilPiS6_PS4_lS6_lS6_li
; %bb.0:
	s_clause 0x1
	s_load_b32 s2, s[0:1], 0x7c
	s_load_b32 s3, s[0:1], 0x68
	s_waitcnt lgkmcnt(0)
	s_and_b32 s2, s2, 0xffff
	s_delay_alu instid0(SALU_CYCLE_1) | instskip(SKIP_1) | instid1(VALU_DEP_1)
	v_mad_u64_u32 v[1:2], null, s15, s2, v[0:1]
	s_mov_b32 s2, exec_lo
	v_cmpx_gt_i32_e64 s3, v1
	s_cbranch_execz .LBB1_7
; %bb.1:
	s_clause 0x1
	s_load_b512 s[4:19], s[0:1], 0x20
	s_load_b32 s2, s[0:1], 0x18
	v_ashrrev_i32_e32 v2, 31, v1
	s_load_b64 s[20:21], s[0:1], 0x10
	v_mov_b32_e32 v9, 1
	s_waitcnt lgkmcnt(0)
	v_mul_lo_u32 v0, v1, s5
	v_mul_lo_u32 v5, v2, s4
	v_mad_u64_u32 v[3:4], null, v1, s4, 0
	s_ashr_i32 s3, s2, 31
	s_delay_alu instid0(SALU_CYCLE_1) | instskip(NEXT) | instid1(SALU_CYCLE_1)
	s_lshl_b64 s[2:3], s[2:3], 2
	s_add_u32 s2, s2, s20
	s_addc_u32 s3, s3, s21
	s_delay_alu instid0(VALU_DEP_1) | instskip(NEXT) | instid1(VALU_DEP_1)
	v_add3_u32 v4, v4, v0, v5
	v_lshlrev_b64 v[3:4], 2, v[3:4]
	s_delay_alu instid0(VALU_DEP_1) | instskip(NEXT) | instid1(VALU_DEP_2)
	v_add_co_u32 v3, vcc_lo, s2, v3
	v_add_co_ci_u32_e32 v4, vcc_lo, s3, v4, vcc_lo
	s_load_b64 s[2:3], s[0:1], 0x60
	global_load_b32 v0, v[3:4], off
	s_waitcnt lgkmcnt(0)
	v_mul_lo_u32 v3, v1, s3
	v_mul_lo_u32 v4, v2, s2
	v_mad_u64_u32 v[5:6], null, v1, s2, 0
	s_load_b128 s[0:3], s[0:1], 0x0
	s_delay_alu instid0(VALU_DEP_1) | instskip(SKIP_1) | instid1(VALU_DEP_2)
	v_add3_u32 v6, v6, v3, v4
	v_lshlrev_b64 v[3:4], 2, v[1:2]
	v_lshlrev_b64 v[5:6], 2, v[5:6]
	s_delay_alu instid0(VALU_DEP_2) | instskip(NEXT) | instid1(VALU_DEP_3)
	v_add_co_u32 v7, vcc_lo, s8, v3
	v_add_co_ci_u32_e32 v8, vcc_lo, s9, v4, vcc_lo
	s_delay_alu instid0(VALU_DEP_3) | instskip(NEXT) | instid1(VALU_DEP_4)
	v_add_co_u32 v5, vcc_lo, s18, v5
	v_add_co_ci_u32_e32 v6, vcc_lo, s19, v6, vcc_lo
	s_waitcnt lgkmcnt(0)
	s_cmpk_lg_i32 s0, 0xe8
	global_store_b32 v[7:8], v9, off
	s_cselect_b32 s3, -1, 0
	global_store_b32 v[5:6], v9, off
	s_and_b32 vcc_lo, exec_lo, s3
	s_cbranch_vccnz .LBB1_3
; %bb.2:
	s_waitcnt vmcnt(0)
	v_cmp_nge_f32_e32 vcc_lo, s1, v0
	v_cmp_nlt_f32_e64 s0, s2, v0
	s_and_not1_b32 s1, s3, exec_lo
	s_delay_alu instid0(VALU_DEP_1) | instskip(NEXT) | instid1(SALU_CYCLE_1)
	s_and_b32 s0, vcc_lo, s0
	s_and_b32 s2, s0, exec_lo
	s_mov_b32 s0, -1
	s_or_b32 s3, s1, s2
	s_delay_alu instid0(SALU_CYCLE_1) | instskip(NEXT) | instid1(SALU_CYCLE_1)
	s_and_saveexec_b32 s1, s3
	s_xor_b32 s1, exec_lo, s1
	s_cbranch_execnz .LBB1_4
	s_branch .LBB1_5
.LBB1_3:
	s_mov_b32 s0, 0
	s_and_saveexec_b32 s1, s3
	s_delay_alu instid0(SALU_CYCLE_1)
	s_xor_b32 s1, exec_lo, s1
	s_cbranch_execz .LBB1_5
.LBB1_4:
	v_mul_lo_u32 v9, v2, s12
	v_mul_lo_u32 v10, v1, s13
	v_mad_u64_u32 v[5:6], null, v1, s12, 0
	v_mul_lo_u32 v2, v2, s16
	v_mul_lo_u32 v11, v1, s17
	v_mad_u64_u32 v[7:8], null, v1, s16, 0
	s_and_not1_b32 s0, s0, exec_lo
	s_delay_alu instid0(VALU_DEP_4) | instskip(SKIP_1) | instid1(VALU_DEP_3)
	v_add3_u32 v6, v6, v10, v9
	v_mov_b32_e32 v9, 1
	v_add3_u32 v8, v8, v11, v2
	s_delay_alu instid0(VALU_DEP_3) | instskip(SKIP_2) | instid1(VALU_DEP_4)
	v_lshlrev_b64 v[1:2], 2, v[5:6]
	v_add_co_u32 v5, vcc_lo, s6, v3
	v_add_co_ci_u32_e32 v6, vcc_lo, s7, v4, vcc_lo
	v_lshlrev_b64 v[7:8], 2, v[7:8]
	s_delay_alu instid0(VALU_DEP_4)
	v_add_co_u32 v1, vcc_lo, s10, v1
	v_add_co_ci_u32_e32 v2, vcc_lo, s11, v2, vcc_lo
	global_store_b32 v[5:6], v9, off
	s_waitcnt vmcnt(0)
	global_store_b32 v[1:2], v0, off
	v_add_co_u32 v7, vcc_lo, s14, v7
	v_add_co_ci_u32_e32 v8, vcc_lo, s15, v8, vcc_lo
	global_store_b32 v[7:8], v9, off
.LBB1_5:
	s_or_b32 exec_lo, exec_lo, s1
	s_delay_alu instid0(SALU_CYCLE_1)
	s_and_b32 exec_lo, exec_lo, s0
	s_cbranch_execz .LBB1_7
; %bb.6:
	s_waitcnt vmcnt(0)
	v_add_co_u32 v0, vcc_lo, s6, v3
	v_add_co_ci_u32_e32 v1, vcc_lo, s7, v4, vcc_lo
	v_mov_b32_e32 v2, 0
	global_store_b32 v[0:1], v2, off
.LBB1_7:
	s_nop 0
	s_sendmsg sendmsg(MSG_DEALLOC_VGPRS)
	s_endpgm
	.section	.rodata,"a",@progbits
	.p2align	6, 0x0
	.amdhsa_kernel _ZN9rocsolver6v33100L18stebz_case1_kernelIfPfEEv15rocblas_erange_T_S4_T0_ilPiS6_PS4_lS6_lS6_li
		.amdhsa_group_segment_fixed_size 0
		.amdhsa_private_segment_fixed_size 0
		.amdhsa_kernarg_size 368
		.amdhsa_user_sgpr_count 15
		.amdhsa_user_sgpr_dispatch_ptr 0
		.amdhsa_user_sgpr_queue_ptr 0
		.amdhsa_user_sgpr_kernarg_segment_ptr 1
		.amdhsa_user_sgpr_dispatch_id 0
		.amdhsa_user_sgpr_private_segment_size 0
		.amdhsa_wavefront_size32 1
		.amdhsa_uses_dynamic_stack 0
		.amdhsa_enable_private_segment 0
		.amdhsa_system_sgpr_workgroup_id_x 1
		.amdhsa_system_sgpr_workgroup_id_y 0
		.amdhsa_system_sgpr_workgroup_id_z 0
		.amdhsa_system_sgpr_workgroup_info 0
		.amdhsa_system_vgpr_workitem_id 0
		.amdhsa_next_free_vgpr 12
		.amdhsa_next_free_sgpr 22
		.amdhsa_reserve_vcc 1
		.amdhsa_float_round_mode_32 0
		.amdhsa_float_round_mode_16_64 0
		.amdhsa_float_denorm_mode_32 3
		.amdhsa_float_denorm_mode_16_64 3
		.amdhsa_dx10_clamp 1
		.amdhsa_ieee_mode 1
		.amdhsa_fp16_overflow 0
		.amdhsa_workgroup_processor_mode 1
		.amdhsa_memory_ordered 1
		.amdhsa_forward_progress 0
		.amdhsa_shared_vgpr_count 0
		.amdhsa_exception_fp_ieee_invalid_op 0
		.amdhsa_exception_fp_denorm_src 0
		.amdhsa_exception_fp_ieee_div_zero 0
		.amdhsa_exception_fp_ieee_overflow 0
		.amdhsa_exception_fp_ieee_underflow 0
		.amdhsa_exception_fp_ieee_inexact 0
		.amdhsa_exception_int_div_zero 0
	.end_amdhsa_kernel
	.section	.text._ZN9rocsolver6v33100L18stebz_case1_kernelIfPfEEv15rocblas_erange_T_S4_T0_ilPiS6_PS4_lS6_lS6_li,"axG",@progbits,_ZN9rocsolver6v33100L18stebz_case1_kernelIfPfEEv15rocblas_erange_T_S4_T0_ilPiS6_PS4_lS6_lS6_li,comdat
.Lfunc_end1:
	.size	_ZN9rocsolver6v33100L18stebz_case1_kernelIfPfEEv15rocblas_erange_T_S4_T0_ilPiS6_PS4_lS6_lS6_li, .Lfunc_end1-_ZN9rocsolver6v33100L18stebz_case1_kernelIfPfEEv15rocblas_erange_T_S4_T0_ilPiS6_PS4_lS6_lS6_li
                                        ; -- End function
	.section	.AMDGPU.csdata,"",@progbits
; Kernel info:
; codeLenInByte = 628
; NumSgprs: 24
; NumVgprs: 12
; ScratchSize: 0
; MemoryBound: 0
; FloatMode: 240
; IeeeMode: 1
; LDSByteSize: 0 bytes/workgroup (compile time only)
; SGPRBlocks: 2
; VGPRBlocks: 1
; NumSGPRsForWavesPerEU: 24
; NumVGPRsForWavesPerEU: 12
; Occupancy: 16
; WaveLimiterHint : 0
; COMPUTE_PGM_RSRC2:SCRATCH_EN: 0
; COMPUTE_PGM_RSRC2:USER_SGPR: 15
; COMPUTE_PGM_RSRC2:TRAP_HANDLER: 0
; COMPUTE_PGM_RSRC2:TGID_X_EN: 1
; COMPUTE_PGM_RSRC2:TGID_Y_EN: 0
; COMPUTE_PGM_RSRC2:TGID_Z_EN: 0
; COMPUTE_PGM_RSRC2:TIDIG_COMP_CNT: 0
	.section	.text._ZN9rocsolver6v33100L22stebz_splitting_kernelIfPfEEv15rocblas_erange_iT_S4_iiT0_iiS5_iiPiPS4_lS6_lS6_S7_S7_S7_S7_S6_S4_S4_,"axG",@progbits,_ZN9rocsolver6v33100L22stebz_splitting_kernelIfPfEEv15rocblas_erange_iT_S4_iiT0_iiS5_iiPiPS4_lS6_lS6_S7_S7_S7_S7_S6_S4_S4_,comdat
	.globl	_ZN9rocsolver6v33100L22stebz_splitting_kernelIfPfEEv15rocblas_erange_iT_S4_iiT0_iiS5_iiPiPS4_lS6_lS6_S7_S7_S7_S7_S6_S4_S4_ ; -- Begin function _ZN9rocsolver6v33100L22stebz_splitting_kernelIfPfEEv15rocblas_erange_iT_S4_iiT0_iiS5_iiPiPS4_lS6_lS6_S7_S7_S7_S7_S6_S4_S4_
	.p2align	8
	.type	_ZN9rocsolver6v33100L22stebz_splitting_kernelIfPfEEv15rocblas_erange_iT_S4_iiT0_iiS5_iiPiPS4_lS6_lS6_S7_S7_S7_S7_S6_S4_S4_,@function
_ZN9rocsolver6v33100L22stebz_splitting_kernelIfPfEEv15rocblas_erange_iT_S4_iiT0_iiS5_iiPiPS4_lS6_lS6_S7_S7_S7_S7_S6_S4_S4_: ; @_ZN9rocsolver6v33100L22stebz_splitting_kernelIfPfEEv15rocblas_erange_iT_S4_iiT0_iiS5_iiPiPS4_lS6_lS6_S7_S7_S7_S7_S6_S4_S4_
; %bb.0:
	s_clause 0x1
	s_load_b128 s[24:27], s[0:1], 0x0
	s_load_b64 s[36:37], s[0:1], 0x10
	v_dual_mov_b32 v3, 0 :: v_dual_lshlrev_b32 v14, 2, v0
	s_mov_b32 s34, s15
	s_waitcnt lgkmcnt(0)
	s_add_i32 s33, s25, -1
	s_delay_alu instid0(SALU_CYCLE_1) | instskip(NEXT) | instid1(SALU_CYCLE_1)
	s_ashr_i32 s2, s33, 31
	s_lshr_b32 s2, s2, 24
	s_delay_alu instid0(SALU_CYCLE_1) | instskip(NEXT) | instid1(SALU_CYCLE_1)
	s_add_i32 s2, s33, s2
	s_and_b32 s3, s2, 0xffffff00
	s_ashr_i32 s2, s2, 8
	s_sub_i32 s3, s33, s3
	s_delay_alu instid0(SALU_CYCLE_1)
	v_cmp_gt_i32_e32 vcc_lo, s3, v0
	v_add_co_ci_u32_e64 v15, null, s2, 0, vcc_lo
	v_cmp_eq_u32_e64 s2, 0, v0
	v_cmp_ne_u32_e32 vcc_lo, 0, v0
	ds_store_b32 v14, v15
	s_waitcnt lgkmcnt(0)
	s_barrier
	buffer_gl0_inv
	s_and_saveexec_b32 s4, vcc_lo
	s_cbranch_execz .LBB2_10
; %bb.1:
	v_mov_b32_e32 v3, 0
	v_mov_b32_e32 v1, 0
	s_mov_b32 s6, 0
	s_mov_b32 s5, exec_lo
	v_cmpx_lt_u32_e32 7, v0
	s_cbranch_execz .LBB2_5
; %bb.2:
	v_and_b32_e32 v1, 0xf8, v0
	v_mov_b32_e32 v3, 0
	s_mov_b32 s7, 0
	s_mov_b32 s8, 0
	.p2align	6
.LBB2_3:                                ; =>This Inner Loop Header: Depth=1
	v_mov_b32_e32 v2, s6
	s_add_i32 s8, s8, 8
	s_add_i32 s6, s6, 32
	v_cmp_eq_u32_e64 s3, s8, v1
	ds_load_b128 v[4:7], v2
	ds_load_b128 v[8:11], v2 offset:16
	s_or_b32 s7, s3, s7
	s_waitcnt lgkmcnt(1)
	v_add_nc_u32_e32 v2, v4, v3
	s_delay_alu instid0(VALU_DEP_1) | instskip(NEXT) | instid1(VALU_DEP_1)
	v_add_nc_u32_e32 v2, v5, v2
	v_add_nc_u32_e32 v2, v6, v2
	s_delay_alu instid0(VALU_DEP_1) | instskip(SKIP_1) | instid1(VALU_DEP_1)
	v_add_nc_u32_e32 v2, v7, v2
	s_waitcnt lgkmcnt(0)
	v_add_nc_u32_e32 v2, v8, v2
	s_delay_alu instid0(VALU_DEP_1) | instskip(NEXT) | instid1(VALU_DEP_1)
	v_add_nc_u32_e32 v2, v9, v2
	v_add_nc_u32_e32 v2, v10, v2
	s_delay_alu instid0(VALU_DEP_1)
	v_add_nc_u32_e32 v3, v11, v2
	s_and_not1_b32 exec_lo, exec_lo, s7
	s_cbranch_execnz .LBB2_3
; %bb.4:
	s_or_b32 exec_lo, exec_lo, s7
.LBB2_5:
	s_delay_alu instid0(SALU_CYCLE_1) | instskip(SKIP_3) | instid1(VALU_DEP_1)
	s_or_b32 exec_lo, exec_lo, s5
	v_and_b32_e32 v2, 7, v0
	s_mov_b32 s6, 0
	s_mov_b32 s5, exec_lo
	v_cmpx_ne_u32_e32 0, v2
	s_cbranch_execz .LBB2_9
; %bb.6:
	v_lshlrev_b32_e32 v1, 2, v1
.LBB2_7:                                ; =>This Inner Loop Header: Depth=1
	ds_load_b32 v4, v1
	v_add_nc_u32_e32 v2, -1, v2
	v_add_nc_u32_e32 v1, 4, v1
	s_delay_alu instid0(VALU_DEP_2) | instskip(NEXT) | instid1(VALU_DEP_1)
	v_cmp_eq_u32_e64 s3, 0, v2
	s_or_b32 s6, s3, s6
	s_waitcnt lgkmcnt(0)
	v_add_nc_u32_e32 v3, v4, v3
	s_and_not1_b32 exec_lo, exec_lo, s6
	s_cbranch_execnz .LBB2_7
; %bb.8:
	s_or_b32 exec_lo, exec_lo, s6
.LBB2_9:
	s_delay_alu instid0(SALU_CYCLE_1)
	s_or_b32 exec_lo, exec_lo, s5
.LBB2_10:
	s_delay_alu instid0(SALU_CYCLE_1)
	s_or_b32 exec_lo, exec_lo, s4
	s_clause 0x2
	s_load_b128 s[28:31], s[0:1], 0x18
	s_load_b512 s[8:23], s[0:1], 0x38
	s_load_b64 s[38:39], s[0:1], 0x90
	v_ashrrev_i32_e32 v4, 31, v3
	s_mul_i32 s4, s34, s25
	s_mul_i32 s40, s33, s34
	s_ashr_i32 s5, s4, 31
	s_ashr_i32 s35, s34, 31
	v_lshlrev_b64 v[12:13], 2, v[3:4]
	s_lshl_b64 s[4:5], s[4:5], 2
	s_ashr_i32 s41, s40, 31
	v_mov_b32_e32 v4, 0
	s_waitcnt lgkmcnt(0)
	s_ashr_i32 s43, s30, 31
	s_mul_i32 s3, s34, s13
	s_mul_hi_u32 s6, s34, s12
	s_add_u32 s4, s18, s4
	s_addc_u32 s5, s19, s5
	s_add_i32 s6, s6, s3
	v_add_co_u32 v1, s3, s4, v12
	s_delay_alu instid0(VALU_DEP_1)
	v_add_co_ci_u32_e64 v2, s3, s5, v13, s3
	s_mul_i32 s7, s35, s12
	s_mov_b32 s42, s30
	s_mul_hi_i32 s45, s31, s34
	s_mul_i32 s44, s31, s34
	s_add_i32 s19, s6, s7
	s_mul_i32 s18, s34, s12
	s_mov_b32 s6, 0
	s_mov_b32 s5, exec_lo
	v_cmpx_lt_i32_e32 0, v15
	s_cbranch_execz .LBB2_16
; %bb.11:
	s_load_b128 s[48:51], s[0:1], 0x28
	v_mov_b32_e32 v4, 0
	s_waitcnt lgkmcnt(0)
	s_ashr_i32 s13, s50, 31
	s_mul_hi_i32 s31, s34, s51
	s_mul_i32 s30, s34, s51
	s_mov_b32 s12, s50
	s_lshl_b64 s[30:31], s[30:31], 2
	s_lshl_b64 s[12:13], s[12:13], 2
	s_delay_alu instid0(SALU_CYCLE_1)
	s_add_u32 s3, s30, s12
	s_addc_u32 s4, s31, s13
	s_add_u32 s3, s48, s3
	s_addc_u32 s4, s49, s4
	v_add_co_u32 v6, s3, s3, v12
	s_lshl_b64 s[12:13], s[44:45], 2
	s_lshl_b64 s[30:31], s[42:43], 2
	v_add_co_ci_u32_e64 v7, s3, s4, v13, s3
	s_add_u32 s3, s12, s30
	s_addc_u32 s4, s13, s31
	s_add_u32 s3, s28, s3
	s_addc_u32 s4, s29, s4
	v_add_co_u32 v8, s3, s3, v12
	s_lshl_b64 s[12:13], s[40:41], 2
	v_add_co_ci_u32_e64 v9, s3, s4, v13, s3
	s_add_u32 s3, s22, s12
	s_addc_u32 s4, s23, s13
	v_add_co_u32 v10, s3, s3, v12
	s_lshl_b64 s[12:13], s[18:19], 2
	v_add_co_ci_u32_e64 v11, s3, s4, v13, s3
	s_add_u32 s3, s10, s12
	s_addc_u32 s4, s11, s13
	v_add_co_u32 v12, s3, s3, v12
	s_delay_alu instid0(VALU_DEP_1)
	v_add_co_ci_u32_e64 v13, s3, s4, v13, s3
	s_branch .LBB2_13
.LBB2_12:                               ;   in Loop: Header=BB2_13 Depth=1
	s_or_b32 exec_lo, exec_lo, s4
	v_add_co_u32 v6, s3, v6, 4
	s_delay_alu instid0(VALU_DEP_1)
	v_add_co_ci_u32_e64 v7, s3, 0, v7, s3
	v_add_co_u32 v8, s3, v8, 4
	v_add_nc_u32_e32 v15, -1, v15
	v_add_co_ci_u32_e64 v9, s3, 0, v9, s3
	global_store_b32 v[10:11], v5, off
	global_store_b32 v[12:13], v16, off
	v_add_co_u32 v10, s3, v10, 4
	s_delay_alu instid0(VALU_DEP_1) | instskip(SKIP_4) | instid1(VALU_DEP_4)
	v_add_co_ci_u32_e64 v11, s3, 0, v11, s3
	v_cmp_eq_u32_e64 s3, 0, v15
	v_add_co_u32 v12, s4, v12, 4
	v_add_nc_u32_e32 v3, 1, v3
	v_add_co_ci_u32_e64 v13, s4, 0, v13, s4
	s_or_b32 s6, s3, s6
	s_delay_alu instid0(SALU_CYCLE_1)
	s_and_not1_b32 exec_lo, exec_lo, s6
	s_cbranch_execz .LBB2_15
.LBB2_13:                               ; =>This Inner Loop Header: Depth=1
	global_load_b64 v[17:18], v[8:9], off
	global_load_b32 v16, v[6:7], off
	s_mov_b32 s4, exec_lo
	s_waitcnt vmcnt(1)
	v_mul_f32_e32 v5, v17, v18
	s_delay_alu instid0(VALU_DEP_1) | instskip(SKIP_2) | instid1(VALU_DEP_2)
	v_mul_f32_e64 v17, |v5|, s38
	s_waitcnt vmcnt(0)
	v_mul_f32_e32 v5, v16, v16
	v_fma_f32 v17, v17, s38, s39
	s_delay_alu instid0(VALU_DEP_1)
	v_cmpx_gt_f32_e32 v17, v5
	s_cbranch_execz .LBB2_12
; %bb.14:                               ;   in Loop: Header=BB2_13 Depth=1
	v_ashrrev_i32_e32 v5, 31, v4
	s_delay_alu instid0(VALU_DEP_1) | instskip(SKIP_1) | instid1(VALU_DEP_2)
	v_lshlrev_b64 v[16:17], 2, v[4:5]
	v_dual_mov_b32 v5, 0 :: v_dual_add_nc_u32 v4, 1, v4
	v_add_co_u32 v18, s3, v1, v16
	s_delay_alu instid0(VALU_DEP_1)
	v_add_co_ci_u32_e64 v19, s3, v2, v17, s3
	v_mov_b32_e32 v16, 0
	global_store_b32 v[18:19], v3, off
	s_branch .LBB2_12
.LBB2_15:
	s_or_b32 exec_lo, exec_lo, s6
.LBB2_16:
	s_delay_alu instid0(SALU_CYCLE_1)
	s_or_b32 exec_lo, exec_lo, s5
	v_mov_b32_e32 v5, 0
	ds_store_b32 v14, v4
	s_waitcnt lgkmcnt(0)
	s_waitcnt_vscnt null, 0x0
	s_barrier
	buffer_gl0_inv
	s_and_saveexec_b32 s3, vcc_lo
	s_cbranch_execz .LBB2_26
; %bb.17:
	v_mov_b32_e32 v5, 0
	v_mov_b32_e32 v3, 0
	s_mov_b32 s5, 0
	s_mov_b32 s4, exec_lo
	v_cmpx_lt_u32_e32 7, v0
	s_cbranch_execz .LBB2_21
; %bb.18:
	v_and_b32_e32 v3, 0xf8, v0
	v_mov_b32_e32 v5, 0
	s_mov_b32 s6, 0
	s_mov_b32 s7, 0
	.p2align	6
.LBB2_19:                               ; =>This Inner Loop Header: Depth=1
	v_mov_b32_e32 v10, s5
	s_add_i32 s7, s7, 8
	s_add_i32 s5, s5, 32
	v_cmp_eq_u32_e32 vcc_lo, s7, v3
	ds_load_b128 v[6:9], v10
	ds_load_b128 v[10:13], v10 offset:16
	s_or_b32 s6, vcc_lo, s6
	s_waitcnt lgkmcnt(1)
	v_add_nc_u32_e32 v5, v6, v5
	s_delay_alu instid0(VALU_DEP_1) | instskip(NEXT) | instid1(VALU_DEP_1)
	v_add_nc_u32_e32 v5, v7, v5
	v_add_nc_u32_e32 v5, v8, v5
	s_delay_alu instid0(VALU_DEP_1) | instskip(SKIP_1) | instid1(VALU_DEP_1)
	v_add_nc_u32_e32 v5, v9, v5
	s_waitcnt lgkmcnt(0)
	v_add_nc_u32_e32 v5, v10, v5
	s_delay_alu instid0(VALU_DEP_1) | instskip(NEXT) | instid1(VALU_DEP_1)
	v_add_nc_u32_e32 v5, v11, v5
	v_add_nc_u32_e32 v5, v12, v5
	s_delay_alu instid0(VALU_DEP_1)
	v_add_nc_u32_e32 v5, v13, v5
	s_and_not1_b32 exec_lo, exec_lo, s6
	s_cbranch_execnz .LBB2_19
; %bb.20:
	s_or_b32 exec_lo, exec_lo, s6
.LBB2_21:
	s_delay_alu instid0(SALU_CYCLE_1) | instskip(SKIP_3) | instid1(VALU_DEP_1)
	s_or_b32 exec_lo, exec_lo, s4
	v_and_b32_e32 v6, 7, v0
	s_mov_b32 s5, 0
	s_mov_b32 s4, exec_lo
	v_cmpx_ne_u32_e32 0, v6
	s_cbranch_execz .LBB2_25
; %bb.22:
	v_lshlrev_b32_e32 v3, 2, v3
.LBB2_23:                               ; =>This Inner Loop Header: Depth=1
	ds_load_b32 v7, v3
	v_add_nc_u32_e32 v6, -1, v6
	v_add_nc_u32_e32 v3, 4, v3
	s_delay_alu instid0(VALU_DEP_2)
	v_cmp_eq_u32_e32 vcc_lo, 0, v6
	s_or_b32 s5, vcc_lo, s5
	s_waitcnt lgkmcnt(0)
	v_add_nc_u32_e32 v5, v7, v5
	s_and_not1_b32 exec_lo, exec_lo, s5
	s_cbranch_execnz .LBB2_23
; %bb.24:
	s_or_b32 exec_lo, exec_lo, s5
.LBB2_25:
	s_delay_alu instid0(SALU_CYCLE_1)
	s_or_b32 exec_lo, exec_lo, s4
.LBB2_26:
	s_delay_alu instid0(SALU_CYCLE_1)
	s_or_b32 exec_lo, exec_lo, s3
	s_mul_i32 s3, s34, s17
	s_mul_hi_u32 s4, s34, s16
	s_mov_b32 s7, 0
	s_add_i32 s3, s4, s3
	s_mul_i32 s4, s35, s16
	s_mov_b32 s6, exec_lo
	s_add_i32 s5, s3, s4
	s_mul_i32 s4, s34, s16
	v_cmpx_lt_i32_e32 0, v4
	s_cbranch_execz .LBB2_29
; %bb.27:
	v_ashrrev_i32_e32 v6, 31, v5
	s_lshl_b64 s[12:13], s[4:5], 2
	v_mov_b32_e32 v3, v4
	s_add_u32 s3, s14, s12
	s_addc_u32 s12, s15, s13
	v_lshlrev_b64 v[6:7], 2, v[5:6]
	s_delay_alu instid0(VALU_DEP_1) | instskip(NEXT) | instid1(VALU_DEP_2)
	v_add_co_u32 v6, vcc_lo, s3, v6
	v_add_co_ci_u32_e32 v7, vcc_lo, s12, v7, vcc_lo
	.p2align	6
.LBB2_28:                               ; =>This Inner Loop Header: Depth=1
	global_load_b32 v8, v[1:2], off
	v_add_nc_u32_e32 v3, -1, v3
	v_add_co_u32 v1, vcc_lo, v1, 4
	v_add_co_ci_u32_e32 v2, vcc_lo, 0, v2, vcc_lo
	s_delay_alu instid0(VALU_DEP_3)
	v_cmp_eq_u32_e32 vcc_lo, 0, v3
	s_or_b32 s7, vcc_lo, s7
	s_waitcnt vmcnt(0)
	v_add_nc_u32_e32 v8, 1, v8
	global_store_b32 v[6:7], v8, off
	v_add_co_u32 v6, s3, v6, 4
	s_delay_alu instid0(VALU_DEP_1)
	v_add_co_ci_u32_e64 v7, s3, 0, v7, s3
	s_and_not1_b32 exec_lo, exec_lo, s7
	s_cbranch_execnz .LBB2_28
.LBB2_29:
	s_or_b32 exec_lo, exec_lo, s6
	v_cmp_eq_u32_e64 s3, 0xff, v0
	s_delay_alu instid0(VALU_DEP_1)
	s_and_saveexec_b32 s6, s3
	s_cbranch_execz .LBB2_31
; %bb.30:
	v_dual_mov_b32 v4, 0 :: v_dual_add_nc_u32 v1, v5, v4
	s_lshl_b64 s[12:13], s[34:35], 2
	v_mov_b32_e32 v5, s25
	s_add_u32 s8, s8, s12
	s_delay_alu instid0(VALU_DEP_2) | instskip(SKIP_2) | instid1(SALU_CYCLE_1)
	v_ashrrev_i32_e32 v2, 31, v1
	s_addc_u32 s9, s9, s13
	s_lshl_b64 s[4:5], s[4:5], 2
	s_add_u32 s4, s14, s4
	s_delay_alu instid0(VALU_DEP_1) | instskip(SKIP_2) | instid1(VALU_DEP_2)
	v_lshlrev_b64 v[2:3], 2, v[1:2]
	s_addc_u32 s5, s15, s5
	v_add_nc_u32_e32 v1, 1, v1
	v_add_co_u32 v2, vcc_lo, s4, v2
	s_delay_alu instid0(VALU_DEP_3)
	v_add_co_ci_u32_e32 v3, vcc_lo, s5, v3, vcc_lo
	global_store_b32 v[2:3], v5, off
	global_store_b32 v4, v1, s[8:9]
.LBB2_31:
	s_or_b32 exec_lo, exec_lo, s6
	v_bfrev_b32_e32 v4, -2
	v_mov_b32_e32 v3, 0
	s_mov_b32 s5, exec_lo
	s_waitcnt_vscnt null, 0x0
	s_barrier
	buffer_gl0_inv
	v_cmpx_gt_i32_e64 s33, v0
	s_cbranch_execz .LBB2_35
; %bb.32:
	s_lshl_b64 s[6:7], s[40:41], 2
	v_mov_b32_e32 v3, 0
	s_add_u32 s4, s22, s6
	s_addc_u32 s6, s23, s7
	v_add_co_u32 v1, s4, s4, v14
	s_delay_alu instid0(VALU_DEP_1)
	v_add_co_ci_u32_e64 v2, null, s6, 0, s4
	v_bfrev_b32_e32 v4, -2
	v_mov_b32_e32 v5, v0
	s_mov_b32 s6, 0
	.p2align	6
.LBB2_33:                               ; =>This Inner Loop Header: Depth=1
	global_load_b32 v6, v[1:2], off
	v_cmp_eq_u32_e32 vcc_lo, 0x7fffffff, v4
	v_add_nc_u32_e32 v7, 1, v5
	v_add_co_u32 v1, s4, 0x400, v1
	s_delay_alu instid0(VALU_DEP_1) | instskip(SKIP_2) | instid1(VALU_DEP_1)
	v_add_co_ci_u32_e64 v2, s4, 0, v2, s4
	s_waitcnt vmcnt(0)
	v_cmp_lt_f32_e64 s7, v3, |v6|
	s_or_b32 vcc_lo, s7, vcc_lo
	v_dual_cndmask_b32 v4, v4, v7 :: v_dual_add_nc_u32 v5, 0x100, v5
	v_cndmask_b32_e64 v3, v3, |v6|, vcc_lo
	s_delay_alu instid0(VALU_DEP_2) | instskip(NEXT) | instid1(VALU_DEP_1)
	v_cmp_le_i32_e64 s4, s33, v5
	s_or_b32 s6, s4, s6
	s_delay_alu instid0(SALU_CYCLE_1)
	s_and_not1_b32 exec_lo, exec_lo, s6
	s_cbranch_execnz .LBB2_33
; %bb.34:
	s_or_b32 exec_lo, exec_lo, s6
.LBB2_35:
	s_delay_alu instid0(SALU_CYCLE_1)
	s_or_b32 exec_lo, exec_lo, s5
	s_cmp_lt_i32 s25, 3
	ds_store_b32 v14, v3 offset:1024
	ds_store_b32 v14, v4
	s_waitcnt lgkmcnt(0)
	s_barrier
	buffer_gl0_inv
	s_cbranch_scc1 .LBB2_72
; %bb.36:
	v_or_b32_e32 v1, 0x400, v14
	s_mov_b32 s5, exec_lo
	v_cmpx_gt_u32_e32 0x80, v0
	s_cbranch_execz .LBB2_42
; %bb.37:
	ds_load_b32 v2, v1 offset:512
	ds_load_b32 v5, v14 offset:512
	s_mov_b32 s7, exec_lo
	s_waitcnt lgkmcnt(1)
	v_cmp_lt_f32_e64 s6, v3, v2
	v_cmpx_nlt_f32_e32 v3, v2
	s_cbranch_execz .LBB2_39
; %bb.38:
	v_cmp_eq_f32_e32 vcc_lo, v3, v2
	s_waitcnt lgkmcnt(0)
	v_cmp_gt_i32_e64 s4, v4, v5
	s_and_not1_b32 s6, s6, exec_lo
	s_delay_alu instid0(VALU_DEP_1) | instskip(NEXT) | instid1(SALU_CYCLE_1)
	s_and_b32 s4, vcc_lo, s4
	s_and_b32 s4, s4, exec_lo
	s_delay_alu instid0(SALU_CYCLE_1)
	s_or_b32 s6, s6, s4
.LBB2_39:
	s_or_b32 exec_lo, exec_lo, s7
	s_delay_alu instid0(VALU_DEP_2)
	s_and_saveexec_b32 s4, s6
	s_cbranch_execz .LBB2_41
; %bb.40:
	s_waitcnt lgkmcnt(0)
	v_dual_mov_b32 v4, v5 :: v_dual_mov_b32 v3, v2
	ds_store_b32 v1, v2
	ds_store_b32 v14, v5
.LBB2_41:
	s_or_b32 exec_lo, exec_lo, s4
.LBB2_42:
	s_delay_alu instid0(SALU_CYCLE_1) | instskip(NEXT) | instid1(SALU_CYCLE_1)
	s_or_b32 exec_lo, exec_lo, s5
	s_mov_b32 s5, exec_lo
	s_waitcnt lgkmcnt(0)
	s_barrier
	buffer_gl0_inv
	v_cmpx_gt_u32_e32 64, v0
	s_cbranch_execz .LBB2_48
; %bb.43:
	ds_load_b32 v2, v1 offset:256
	ds_load_b32 v5, v14 offset:256
	s_mov_b32 s7, exec_lo
	s_waitcnt lgkmcnt(1)
	v_cmp_lt_f32_e64 s6, v3, v2
	v_cmpx_nlt_f32_e32 v3, v2
	s_cbranch_execz .LBB2_45
; %bb.44:
	v_cmp_eq_f32_e32 vcc_lo, v3, v2
	s_waitcnt lgkmcnt(0)
	v_cmp_gt_i32_e64 s4, v4, v5
	s_and_not1_b32 s6, s6, exec_lo
	s_delay_alu instid0(VALU_DEP_1) | instskip(NEXT) | instid1(SALU_CYCLE_1)
	s_and_b32 s4, vcc_lo, s4
	s_and_b32 s4, s4, exec_lo
	s_delay_alu instid0(SALU_CYCLE_1)
	s_or_b32 s6, s6, s4
.LBB2_45:
	s_or_b32 exec_lo, exec_lo, s7
	s_delay_alu instid0(VALU_DEP_2)
	s_and_saveexec_b32 s4, s6
	s_cbranch_execz .LBB2_47
; %bb.46:
	s_waitcnt lgkmcnt(0)
	v_dual_mov_b32 v4, v5 :: v_dual_mov_b32 v3, v2
	ds_store_b32 v1, v2
	ds_store_b32 v14, v5
.LBB2_47:
	s_or_b32 exec_lo, exec_lo, s4
.LBB2_48:
	s_delay_alu instid0(SALU_CYCLE_1) | instskip(NEXT) | instid1(SALU_CYCLE_1)
	s_or_b32 exec_lo, exec_lo, s5
	s_mov_b32 s6, exec_lo
	s_waitcnt lgkmcnt(0)
	s_barrier
	buffer_gl0_inv
	v_cmpx_gt_u32_e32 32, v0
	s_cbranch_execz .LBB2_71
; %bb.49:
	ds_load_b32 v2, v1 offset:128
	ds_load_b32 v5, v14 offset:128
	s_mov_b32 s7, exec_lo
	s_waitcnt lgkmcnt(1)
	v_cmp_lt_f32_e64 s5, v3, v2
	v_cmpx_nlt_f32_e32 v3, v2
	s_cbranch_execz .LBB2_51
; %bb.50:
	v_cmp_eq_f32_e32 vcc_lo, v3, v2
	s_waitcnt lgkmcnt(0)
	v_cmp_gt_i32_e64 s4, v4, v5
	s_and_not1_b32 s5, s5, exec_lo
	s_delay_alu instid0(VALU_DEP_1) | instskip(NEXT) | instid1(SALU_CYCLE_1)
	s_and_b32 s4, vcc_lo, s4
	s_and_b32 s4, s4, exec_lo
	s_delay_alu instid0(SALU_CYCLE_1)
	s_or_b32 s5, s5, s4
.LBB2_51:
	s_or_b32 exec_lo, exec_lo, s7
	s_delay_alu instid0(VALU_DEP_2)
	s_and_saveexec_b32 s4, s5
	s_cbranch_execz .LBB2_53
; %bb.52:
	s_waitcnt lgkmcnt(0)
	v_dual_mov_b32 v3, v2 :: v_dual_mov_b32 v4, v5
	ds_store_b32 v1, v2
	ds_store_b32 v14, v5
.LBB2_53:
	s_or_b32 exec_lo, exec_lo, s4
	ds_load_b32 v2, v1 offset:64
	s_waitcnt lgkmcnt(1)
	ds_load_b32 v5, v14 offset:64
	s_mov_b32 s7, exec_lo
	s_waitcnt lgkmcnt(1)
	v_cmp_lt_f32_e64 s5, v3, v2
	v_cmpx_nlt_f32_e32 v3, v2
	s_cbranch_execz .LBB2_55
; %bb.54:
	v_cmp_eq_f32_e32 vcc_lo, v3, v2
	s_waitcnt lgkmcnt(0)
	v_cmp_gt_i32_e64 s4, v4, v5
	s_and_not1_b32 s5, s5, exec_lo
	s_delay_alu instid0(VALU_DEP_1) | instskip(NEXT) | instid1(SALU_CYCLE_1)
	s_and_b32 s4, vcc_lo, s4
	s_and_b32 s4, s4, exec_lo
	s_delay_alu instid0(SALU_CYCLE_1)
	s_or_b32 s5, s5, s4
.LBB2_55:
	s_or_b32 exec_lo, exec_lo, s7
	s_delay_alu instid0(VALU_DEP_2)
	s_and_saveexec_b32 s4, s5
	s_cbranch_execz .LBB2_57
; %bb.56:
	s_waitcnt lgkmcnt(0)
	v_dual_mov_b32 v3, v2 :: v_dual_mov_b32 v4, v5
	ds_store_b32 v1, v2
	ds_store_b32 v14, v5
.LBB2_57:
	s_or_b32 exec_lo, exec_lo, s4
	ds_load_b32 v2, v1 offset:32
	s_waitcnt lgkmcnt(1)
	;; [unrolled: 30-line block ×5, first 2 shown]
	ds_load_b32 v5, v14 offset:4
	s_waitcnt lgkmcnt(1)
	v_cmp_eq_f32_e32 vcc_lo, v3, v2
	s_waitcnt lgkmcnt(0)
	v_cmp_gt_i32_e64 s4, v4, v5
	v_cmp_lt_f32_e64 s5, v3, v2
	s_delay_alu instid0(VALU_DEP_2)
	s_and_b32 s4, vcc_lo, s4
	s_delay_alu instid0(VALU_DEP_1) | instid1(SALU_CYCLE_1)
	s_or_b32 s4, s5, s4
	s_delay_alu instid0(SALU_CYCLE_1)
	s_and_b32 exec_lo, exec_lo, s4
	s_cbranch_execz .LBB2_71
; %bb.70:
	ds_store_b32 v1, v2
	ds_store_b32 v14, v5
.LBB2_71:
	s_or_b32 exec_lo, exec_lo, s6
.LBB2_72:
	v_dual_mov_b32 v1, 0 :: v_dual_mov_b32 v2, s27
	s_waitcnt lgkmcnt(0)
	s_barrier
	buffer_gl0_inv
	ds_load_b32 v1, v1 offset:1024
	s_clause 0x1
	s_load_b128 s[4:7], s[0:1], 0x78
	s_load_b64 s[12:13], s[0:1], 0x88
	s_cmpk_lg_i32 s24, 0xe9
	s_waitcnt lgkmcnt(0)
	v_mul_f32_e32 v1, s39, v1
	s_delay_alu instid0(VALU_DEP_1)
	v_cmp_gt_f32_e32 vcc_lo, s39, v1
	v_cndmask_b32_e64 v7, v1, s39, vcc_lo
	v_mov_b32_e32 v1, s26
	s_cbranch_scc0 .LBB2_75
; %bb.73:
	s_and_saveexec_b32 s0, s2
	s_cbranch_execnz .LBB2_126
.LBB2_74:
	s_nop 0
	s_sendmsg sendmsg(MSG_DEALLOC_VGPRS)
	s_endpgm
.LBB2_75:
	s_lshl_b64 s[30:31], s[44:45], 2
	v_dual_mov_b32 v2, s27 :: v_dual_mov_b32 v1, s26
	s_add_u32 s0, s28, s30
	s_addc_u32 s1, s29, s31
	s_lshl_b64 s[42:43], s[42:43], 2
	s_delay_alu instid0(SALU_CYCLE_1) | instskip(SKIP_2) | instid1(SALU_CYCLE_1)
	s_add_u32 s44, s0, s42
	s_addc_u32 s45, s1, s43
	s_lshl_b64 s[0:1], s[40:41], 2
	s_add_u32 s22, s22, s0
	s_addc_u32 s23, s23, s1
	s_lshl_b64 s[0:1], s[18:19], 2
	s_delay_alu instid0(SALU_CYCLE_1) | instskip(SKIP_2) | instid1(SALU_CYCLE_1)
	s_add_u32 s18, s10, s0
	s_addc_u32 s19, s11, s1
	s_lshl_b32 s10, s25, 1
	s_mul_i32 s0, s10, s34
	s_delay_alu instid0(SALU_CYCLE_1) | instskip(NEXT) | instid1(SALU_CYCLE_1)
	s_ashr_i32 s1, s0, 31
	s_lshl_b64 s[14:15], s[0:1], 2
	s_delay_alu instid0(SALU_CYCLE_1)
	s_add_u32 s8, s6, s14
	s_addc_u32 s9, s7, s15
	s_add_u32 s16, s12, s14
	s_addc_u32 s17, s13, s15
	s_and_saveexec_b32 s1, s2
	s_cbranch_execz .LBB2_83
; %bb.76:
	v_mov_b32_e32 v5, 0
	s_cmp_gt_i32 s25, 1
	s_clause 0x1
	global_load_b32 v4, v5, s[44:45]
	global_load_b32 v2, v5, s[18:19]
	s_cselect_b32 s11, -1, 0
	s_cmp_lt_i32 s25, 2
	s_waitcnt vmcnt(0)
	v_sub_f32_e64 v1, v4, |v2|
	s_delay_alu instid0(VALU_DEP_1) | instskip(NEXT) | instid1(VALU_DEP_1)
	v_sub_f32_e32 v6, v4, v1
	v_cmp_le_f32_e32 vcc_lo, v6, v7
	v_cndmask_b32_e64 v3, 0, 1, vcc_lo
	s_cbranch_scc1 .LBB2_79
; %bb.77:
	v_cmp_gt_f32_e64 s0, v6, -v7
	s_mov_b64 s[26:27], s[22:23]
	s_delay_alu instid0(VALU_DEP_1) | instskip(NEXT) | instid1(SALU_CYCLE_1)
	s_and_b32 s0, vcc_lo, s0
	v_cndmask_b32_e64 v6, v6, -v7, s0
	s_add_u32 s0, s30, s42
	s_addc_u32 s39, s31, s43
	s_add_u32 s0, s0, s28
	s_addc_u32 s39, s39, s29
	s_add_u32 s40, s0, 4
	s_addc_u32 s41, s39, 0
	s_mov_b32 s39, s33
	s_set_inst_prefetch_distance 0x1
	.p2align	6
.LBB2_78:                               ; =>This Inner Loop Header: Depth=1
	s_clause 0x1
	global_load_b32 v8, v5, s[26:27]
	global_load_b32 v9, v5, s[40:41]
	s_add_i32 s39, s39, -1
	s_waitcnt vmcnt(1)
	v_div_scale_f32 v10, null, v6, v6, v8
	v_div_scale_f32 v13, vcc_lo, v8, v6, v8
	s_waitcnt vmcnt(0)
	v_sub_f32_e32 v9, v9, v1
	s_delay_alu instid0(VALU_DEP_3) | instskip(SKIP_2) | instid1(VALU_DEP_1)
	v_rcp_f32_e32 v11, v10
	s_waitcnt_depctr 0xfff
	v_fma_f32 v12, -v10, v11, 1.0
	v_fmac_f32_e32 v11, v12, v11
	s_delay_alu instid0(VALU_DEP_1) | instskip(NEXT) | instid1(VALU_DEP_1)
	v_mul_f32_e32 v12, v13, v11
	v_fma_f32 v14, -v10, v12, v13
	s_delay_alu instid0(VALU_DEP_1) | instskip(NEXT) | instid1(VALU_DEP_1)
	v_fmac_f32_e32 v12, v14, v11
	v_fma_f32 v10, -v10, v12, v13
	s_delay_alu instid0(VALU_DEP_1) | instskip(NEXT) | instid1(VALU_DEP_1)
	v_div_fmas_f32 v10, v10, v11, v12
	v_div_fixup_f32 v6, v10, v6, v8
	s_delay_alu instid0(VALU_DEP_1) | instskip(NEXT) | instid1(VALU_DEP_1)
	v_sub_f32_e32 v6, v9, v6
	v_cmp_le_f32_e32 vcc_lo, v6, v7
	v_cmp_gt_f32_e64 s46, v6, -v7
	v_add_co_ci_u32_e64 v3, s0, 0, v3, vcc_lo
	s_delay_alu instid0(VALU_DEP_2)
	s_and_b32 s0, vcc_lo, s46
	s_add_u32 s26, s26, 4
	v_cndmask_b32_e64 v6, v6, -v7, s0
	s_addc_u32 s27, s27, 0
	s_add_u32 s40, s40, 4
	s_addc_u32 s41, s41, 0
	s_cmp_lg_u32 s39, 0
	s_cbranch_scc1 .LBB2_78
.LBB2_79:
	s_set_inst_prefetch_distance 0x2
	v_and_b32_e32 v2, 0x7fffffff, v2
	s_and_not1_b32 vcc_lo, exec_lo, s11
	s_delay_alu instid0(VALU_DEP_1) | instskip(NEXT) | instid1(VALU_DEP_1)
	v_add_f32_e32 v2, v4, v2
	v_sub_f32_e32 v6, v4, v2
	s_delay_alu instid0(VALU_DEP_1) | instskip(NEXT) | instid1(VALU_DEP_1)
	v_cmp_le_f32_e64 s0, v6, v7
	v_cndmask_b32_e64 v4, 0, 1, s0
	s_cbranch_vccnz .LBB2_82
; %bb.80:
	v_cmp_gt_f32_e64 s11, v6, -v7
	v_mov_b32_e32 v5, 0
	s_mov_b64 s[26:27], s[22:23]
	s_delay_alu instid0(VALU_DEP_2) | instskip(NEXT) | instid1(SALU_CYCLE_1)
	s_and_b32 s0, s0, s11
	v_cndmask_b32_e64 v6, v6, -v7, s0
	s_add_u32 s0, s30, s42
	s_addc_u32 s11, s31, s43
	s_add_u32 s0, s0, s28
	s_addc_u32 s11, s11, s29
	s_add_u32 s40, s0, 4
	s_addc_u32 s41, s11, 0
	s_mov_b32 s11, s33
	s_set_inst_prefetch_distance 0x1
	.p2align	6
.LBB2_81:                               ; =>This Inner Loop Header: Depth=1
	s_clause 0x1
	global_load_b32 v8, v5, s[26:27]
	global_load_b32 v9, v5, s[40:41]
	s_add_i32 s11, s11, -1
	s_waitcnt vmcnt(1)
	v_div_scale_f32 v10, null, v6, v6, v8
	v_div_scale_f32 v13, vcc_lo, v8, v6, v8
	s_waitcnt vmcnt(0)
	v_sub_f32_e32 v9, v9, v2
	s_delay_alu instid0(VALU_DEP_3) | instskip(SKIP_2) | instid1(VALU_DEP_1)
	v_rcp_f32_e32 v11, v10
	s_waitcnt_depctr 0xfff
	v_fma_f32 v12, -v10, v11, 1.0
	v_fmac_f32_e32 v11, v12, v11
	s_delay_alu instid0(VALU_DEP_1) | instskip(NEXT) | instid1(VALU_DEP_1)
	v_mul_f32_e32 v12, v13, v11
	v_fma_f32 v14, -v10, v12, v13
	s_delay_alu instid0(VALU_DEP_1) | instskip(NEXT) | instid1(VALU_DEP_1)
	v_fmac_f32_e32 v12, v14, v11
	v_fma_f32 v10, -v10, v12, v13
	s_delay_alu instid0(VALU_DEP_1) | instskip(NEXT) | instid1(VALU_DEP_1)
	v_div_fmas_f32 v10, v10, v11, v12
	v_div_fixup_f32 v6, v10, v6, v8
	s_delay_alu instid0(VALU_DEP_1) | instskip(NEXT) | instid1(VALU_DEP_1)
	v_sub_f32_e32 v6, v9, v6
	v_cmp_le_f32_e32 vcc_lo, v6, v7
	v_cmp_gt_f32_e64 s39, v6, -v7
	v_add_co_ci_u32_e64 v4, s0, 0, v4, vcc_lo
	s_delay_alu instid0(VALU_DEP_2)
	s_and_b32 s0, vcc_lo, s39
	s_add_u32 s26, s26, 4
	v_cndmask_b32_e64 v6, v6, -v7, s0
	s_addc_u32 s27, s27, 0
	s_add_u32 s40, s40, 4
	s_addc_u32 s41, s41, 0
	s_cmp_lg_u32 s11, 0
	s_cbranch_scc1 .LBB2_81
.LBB2_82:
	s_set_inst_prefetch_distance 0x2
	v_mov_b32_e32 v5, 0
	s_clause 0x1
	global_store_b64 v5, v[1:2], s[8:9]
	global_store_b64 v5, v[3:4], s[16:17]
.LBB2_83:
	s_or_b32 exec_lo, exec_lo, s1
	v_add_nc_u32_e32 v3, 1, v0
	s_mov_b32 s1, exec_lo
	s_delay_alu instid0(VALU_DEP_1)
	v_cmpx_gt_i32_e64 s33, v3
	s_cbranch_execz .LBB2_93
; %bb.84:
	s_cmp_gt_i32 s25, 1
	v_mov_b32_e32 v4, 0
	s_cselect_b32 s11, -1, 0
	s_add_u32 s0, s30, s42
	s_addc_u32 s26, s31, s43
	s_add_u32 s0, s0, s28
	s_addc_u32 s27, s26, s29
	;; [unrolled: 2-line block ×3, first 2 shown]
	s_mov_b32 s39, 0
	s_branch .LBB2_86
.LBB2_85:                               ;   in Loop: Header=BB2_86 Depth=1
	s_set_inst_prefetch_distance 0x2
	v_dual_mov_b32 v9, v4 :: v_dual_lshlrev_b32 v8, 1, v3
	v_add_nc_u32_e32 v3, 0x100, v3
	s_delay_alu instid0(VALU_DEP_2) | instskip(NEXT) | instid1(VALU_DEP_2)
	v_lshlrev_b64 v[8:9], 2, v[8:9]
	v_cmp_le_i32_e32 vcc_lo, s33, v3
	s_or_b32 s39, vcc_lo, s39
	s_delay_alu instid0(VALU_DEP_2) | instskip(NEXT) | instid1(VALU_DEP_1)
	v_add_co_u32 v10, s0, s8, v8
	v_add_co_ci_u32_e64 v11, s0, s9, v9, s0
	v_add_co_u32 v8, s0, s16, v8
	s_delay_alu instid0(VALU_DEP_1)
	v_add_co_ci_u32_e64 v9, s0, s17, v9, s0
	global_store_b64 v[10:11], v[1:2], off
	global_store_b64 v[8:9], v[5:6], off
	s_and_not1_b32 exec_lo, exec_lo, s39
	s_cbranch_execz .LBB2_92
.LBB2_86:                               ; =>This Loop Header: Depth=1
                                        ;     Child Loop BB2_88 Depth 2
                                        ;     Child Loop BB2_91 Depth 2
	v_lshlrev_b64 v[0:1], 2, v[3:4]
	s_delay_alu instid0(VALU_DEP_1) | instskip(NEXT) | instid1(VALU_DEP_2)
	v_add_co_u32 v5, vcc_lo, s18, v0
	v_add_co_ci_u32_e32 v6, vcc_lo, s19, v1, vcc_lo
	v_add_co_u32 v0, vcc_lo, s44, v0
	v_add_co_ci_u32_e32 v1, vcc_lo, s45, v1, vcc_lo
	s_and_not1_b32 vcc_lo, exec_lo, s11
	global_load_b64 v[8:9], v[5:6], off offset:-4
	s_clause 0x1
	global_load_b32 v0, v[0:1], off
	global_load_b32 v6, v4, s[44:45]
	s_waitcnt vmcnt(2)
	v_add_f32_e64 v2, |v9|, |v8|
	s_waitcnt vmcnt(1)
	s_delay_alu instid0(VALU_DEP_1) | instskip(SKIP_1) | instid1(VALU_DEP_1)
	v_sub_f32_e32 v1, v0, v2
	s_waitcnt vmcnt(0)
	v_sub_f32_e32 v8, v6, v1
	s_delay_alu instid0(VALU_DEP_1) | instskip(NEXT) | instid1(VALU_DEP_1)
	v_cmp_le_f32_e64 s0, v8, v7
	v_cndmask_b32_e64 v5, 0, 1, s0
	s_cbranch_vccnz .LBB2_89
; %bb.87:                               ;   in Loop: Header=BB2_86 Depth=1
	v_cmp_gt_f32_e64 s40, v8, -v7
	s_mov_b64 s[46:47], s[22:23]
	s_mov_b32 s48, s33
	s_delay_alu instid0(VALU_DEP_1)
	s_and_b32 s0, s0, s40
	s_mov_b64 s[40:41], s[26:27]
	v_cndmask_b32_e64 v8, v8, -v7, s0
	s_set_inst_prefetch_distance 0x1
	.p2align	6
.LBB2_88:                               ;   Parent Loop BB2_86 Depth=1
                                        ; =>  This Inner Loop Header: Depth=2
	s_clause 0x1
	global_load_b32 v9, v4, s[46:47]
	global_load_b32 v10, v4, s[40:41]
	s_add_i32 s48, s48, -1
	s_waitcnt vmcnt(1)
	v_div_scale_f32 v11, null, v8, v8, v9
	v_div_scale_f32 v14, vcc_lo, v9, v8, v9
	s_waitcnt vmcnt(0)
	v_sub_f32_e32 v10, v10, v1
	s_delay_alu instid0(VALU_DEP_3) | instskip(SKIP_2) | instid1(VALU_DEP_1)
	v_rcp_f32_e32 v12, v11
	s_waitcnt_depctr 0xfff
	v_fma_f32 v13, -v11, v12, 1.0
	v_fmac_f32_e32 v12, v13, v12
	s_delay_alu instid0(VALU_DEP_1) | instskip(NEXT) | instid1(VALU_DEP_1)
	v_mul_f32_e32 v13, v14, v12
	v_fma_f32 v15, -v11, v13, v14
	s_delay_alu instid0(VALU_DEP_1) | instskip(NEXT) | instid1(VALU_DEP_1)
	v_fmac_f32_e32 v13, v15, v12
	v_fma_f32 v11, -v11, v13, v14
	s_delay_alu instid0(VALU_DEP_1) | instskip(NEXT) | instid1(VALU_DEP_1)
	v_div_fmas_f32 v11, v11, v12, v13
	v_div_fixup_f32 v8, v11, v8, v9
	s_delay_alu instid0(VALU_DEP_1) | instskip(NEXT) | instid1(VALU_DEP_1)
	v_sub_f32_e32 v8, v10, v8
	v_cmp_le_f32_e32 vcc_lo, v8, v7
	v_cmp_gt_f32_e64 s49, v8, -v7
	v_add_co_ci_u32_e64 v5, s0, 0, v5, vcc_lo
	s_delay_alu instid0(VALU_DEP_2)
	s_and_b32 s0, vcc_lo, s49
	s_add_u32 s46, s46, 4
	v_cndmask_b32_e64 v8, v8, -v7, s0
	s_addc_u32 s47, s47, 0
	s_add_u32 s40, s40, 4
	s_addc_u32 s41, s41, 0
	s_cmp_lg_u32 s48, 0
	s_cbranch_scc1 .LBB2_88
.LBB2_89:                               ;   in Loop: Header=BB2_86 Depth=1
	s_set_inst_prefetch_distance 0x2
	v_add_f32_e32 v2, v0, v2
	s_and_not1_b32 vcc_lo, exec_lo, s11
	s_delay_alu instid0(VALU_DEP_1) | instskip(NEXT) | instid1(VALU_DEP_1)
	v_sub_f32_e32 v0, v6, v2
	v_cmp_le_f32_e64 s0, v0, v7
	s_delay_alu instid0(VALU_DEP_1)
	v_cndmask_b32_e64 v6, 0, 1, s0
	s_cbranch_vccnz .LBB2_85
; %bb.90:                               ;   in Loop: Header=BB2_86 Depth=1
	v_cmp_gt_f32_e64 s40, v0, -v7
	s_mov_b64 s[46:47], s[22:23]
	s_mov_b32 s48, s33
	s_delay_alu instid0(VALU_DEP_1)
	s_and_b32 s0, s0, s40
	s_mov_b64 s[40:41], s[26:27]
	v_cndmask_b32_e64 v0, v0, -v7, s0
	s_set_inst_prefetch_distance 0x1
	.p2align	6
.LBB2_91:                               ;   Parent Loop BB2_86 Depth=1
                                        ; =>  This Inner Loop Header: Depth=2
	s_clause 0x1
	global_load_b32 v8, v4, s[46:47]
	global_load_b32 v9, v4, s[40:41]
	s_add_i32 s48, s48, -1
	s_waitcnt vmcnt(1)
	v_div_scale_f32 v10, null, v0, v0, v8
	v_div_scale_f32 v13, vcc_lo, v8, v0, v8
	s_waitcnt vmcnt(0)
	v_sub_f32_e32 v9, v9, v2
	s_delay_alu instid0(VALU_DEP_3) | instskip(SKIP_2) | instid1(VALU_DEP_1)
	v_rcp_f32_e32 v11, v10
	s_waitcnt_depctr 0xfff
	v_fma_f32 v12, -v10, v11, 1.0
	v_fmac_f32_e32 v11, v12, v11
	s_delay_alu instid0(VALU_DEP_1) | instskip(NEXT) | instid1(VALU_DEP_1)
	v_mul_f32_e32 v12, v13, v11
	v_fma_f32 v14, -v10, v12, v13
	s_delay_alu instid0(VALU_DEP_1) | instskip(NEXT) | instid1(VALU_DEP_1)
	v_fmac_f32_e32 v12, v14, v11
	v_fma_f32 v10, -v10, v12, v13
	s_delay_alu instid0(VALU_DEP_1) | instskip(NEXT) | instid1(VALU_DEP_1)
	v_div_fmas_f32 v10, v10, v11, v12
	v_div_fixup_f32 v0, v10, v0, v8
	s_delay_alu instid0(VALU_DEP_1) | instskip(NEXT) | instid1(VALU_DEP_1)
	v_sub_f32_e32 v0, v9, v0
	v_cmp_le_f32_e32 vcc_lo, v0, v7
	v_cmp_gt_f32_e64 s49, v0, -v7
	v_add_co_ci_u32_e64 v6, s0, 0, v6, vcc_lo
	s_delay_alu instid0(VALU_DEP_2)
	s_and_b32 s0, vcc_lo, s49
	s_add_u32 s46, s46, 4
	v_cndmask_b32_e64 v0, v0, -v7, s0
	s_addc_u32 s47, s47, 0
	s_add_u32 s40, s40, 4
	s_addc_u32 s41, s41, 0
	s_cmp_lg_u32 s48, 0
	s_cbranch_scc1 .LBB2_91
	s_branch .LBB2_85
.LBB2_92:
	s_or_b32 exec_lo, exec_lo, s39
.LBB2_93:
	s_delay_alu instid0(SALU_CYCLE_1)
	s_or_b32 exec_lo, exec_lo, s1
	s_and_saveexec_b32 s1, s3
	s_cbranch_execz .LBB2_101
; %bb.94:
	s_ashr_i32 s27, s25, 31
	s_mov_b32 s26, s25
	v_mov_b32_e32 v5, 0
	s_lshl_b64 s[26:27], s[26:27], 2
	s_delay_alu instid0(SALU_CYCLE_1)
	s_add_u32 s40, s44, s26
	s_addc_u32 s41, s45, s27
	s_add_u32 s18, s18, s26
	s_addc_u32 s19, s19, s27
	s_clause 0x2
	global_load_b32 v4, v5, s[18:19] offset:-8
	global_load_b32 v2, v5, s[40:41] offset:-4
	global_load_b32 v0, v5, s[44:45]
	s_cmp_gt_i32 s25, 1
	s_cselect_b32 s3, -1, 0
	s_cmp_lt_i32 s25, 2
	s_waitcnt vmcnt(1)
	v_sub_f32_e64 v1, v2, |v4|
	s_waitcnt vmcnt(0)
	s_delay_alu instid0(VALU_DEP_1) | instskip(NEXT) | instid1(VALU_DEP_1)
	v_sub_f32_e32 v6, v0, v1
	v_cmp_le_f32_e32 vcc_lo, v6, v7
	v_cndmask_b32_e64 v3, 0, 1, vcc_lo
	s_cbranch_scc1 .LBB2_97
; %bb.95:
	v_cmp_gt_f32_e64 s0, v6, -v7
	s_mov_b64 s[18:19], s[22:23]
	s_delay_alu instid0(VALU_DEP_1) | instskip(NEXT) | instid1(SALU_CYCLE_1)
	s_and_b32 s0, vcc_lo, s0
	v_cndmask_b32_e64 v6, v6, -v7, s0
	s_add_u32 s0, s30, s42
	s_addc_u32 s11, s31, s43
	s_add_u32 s0, s0, s28
	s_addc_u32 s11, s11, s29
	;; [unrolled: 2-line block ×3, first 2 shown]
	s_mov_b32 s11, s33
	s_set_inst_prefetch_distance 0x1
	.p2align	6
.LBB2_96:                               ; =>This Inner Loop Header: Depth=1
	s_clause 0x1
	global_load_b32 v8, v5, s[18:19]
	global_load_b32 v9, v5, s[26:27]
	s_add_i32 s11, s11, -1
	s_waitcnt vmcnt(1)
	v_div_scale_f32 v10, null, v6, v6, v8
	v_div_scale_f32 v13, vcc_lo, v8, v6, v8
	s_waitcnt vmcnt(0)
	v_sub_f32_e32 v9, v9, v1
	s_delay_alu instid0(VALU_DEP_3) | instskip(SKIP_2) | instid1(VALU_DEP_1)
	v_rcp_f32_e32 v11, v10
	s_waitcnt_depctr 0xfff
	v_fma_f32 v12, -v10, v11, 1.0
	v_fmac_f32_e32 v11, v12, v11
	s_delay_alu instid0(VALU_DEP_1) | instskip(NEXT) | instid1(VALU_DEP_1)
	v_mul_f32_e32 v12, v13, v11
	v_fma_f32 v14, -v10, v12, v13
	s_delay_alu instid0(VALU_DEP_1) | instskip(NEXT) | instid1(VALU_DEP_1)
	v_fmac_f32_e32 v12, v14, v11
	v_fma_f32 v10, -v10, v12, v13
	s_delay_alu instid0(VALU_DEP_1) | instskip(NEXT) | instid1(VALU_DEP_1)
	v_div_fmas_f32 v10, v10, v11, v12
	v_div_fixup_f32 v6, v10, v6, v8
	s_delay_alu instid0(VALU_DEP_1) | instskip(NEXT) | instid1(VALU_DEP_1)
	v_sub_f32_e32 v6, v9, v6
	v_cmp_le_f32_e32 vcc_lo, v6, v7
	v_cmp_gt_f32_e64 s39, v6, -v7
	v_add_co_ci_u32_e64 v3, s0, 0, v3, vcc_lo
	s_delay_alu instid0(VALU_DEP_2)
	s_and_b32 s0, vcc_lo, s39
	s_add_u32 s18, s18, 4
	v_cndmask_b32_e64 v6, v6, -v7, s0
	s_addc_u32 s19, s19, 0
	s_add_u32 s26, s26, 4
	s_addc_u32 s27, s27, 0
	s_cmp_lg_u32 s11, 0
	s_cbranch_scc1 .LBB2_96
.LBB2_97:
	s_set_inst_prefetch_distance 0x2
	v_and_b32_e32 v4, 0x7fffffff, v4
	s_and_not1_b32 vcc_lo, exec_lo, s3
	s_delay_alu instid0(VALU_DEP_1) | instskip(NEXT) | instid1(VALU_DEP_1)
	v_add_f32_e32 v2, v2, v4
	v_sub_f32_e32 v0, v0, v2
	s_delay_alu instid0(VALU_DEP_1) | instskip(NEXT) | instid1(VALU_DEP_1)
	v_cmp_le_f32_e64 s0, v0, v7
	v_cndmask_b32_e64 v4, 0, 1, s0
	s_cbranch_vccnz .LBB2_100
; %bb.98:
	v_cmp_gt_f32_e64 s3, v0, -v7
	s_delay_alu instid0(VALU_DEP_1) | instskip(NEXT) | instid1(SALU_CYCLE_1)
	s_and_b32 s0, s0, s3
	v_cndmask_b32_e64 v5, v0, -v7, s0
	s_add_u32 s0, s30, s42
	s_addc_u32 s3, s31, s43
	s_add_u32 s0, s0, s28
	v_mov_b32_e32 v0, 0
	s_addc_u32 s3, s3, s29
	s_add_u32 s18, s0, 4
	s_addc_u32 s19, s3, 0
	s_set_inst_prefetch_distance 0x1
	.p2align	6
.LBB2_99:                               ; =>This Inner Loop Header: Depth=1
	s_clause 0x1
	global_load_b32 v6, v0, s[22:23]
	global_load_b32 v8, v0, s[18:19]
	s_add_i32 s33, s33, -1
	s_waitcnt vmcnt(1)
	v_div_scale_f32 v9, null, v5, v5, v6
	v_div_scale_f32 v12, vcc_lo, v6, v5, v6
	s_waitcnt vmcnt(0)
	v_sub_f32_e32 v8, v8, v2
	s_delay_alu instid0(VALU_DEP_3) | instskip(SKIP_2) | instid1(VALU_DEP_1)
	v_rcp_f32_e32 v10, v9
	s_waitcnt_depctr 0xfff
	v_fma_f32 v11, -v9, v10, 1.0
	v_fmac_f32_e32 v10, v11, v10
	s_delay_alu instid0(VALU_DEP_1) | instskip(NEXT) | instid1(VALU_DEP_1)
	v_mul_f32_e32 v11, v12, v10
	v_fma_f32 v13, -v9, v11, v12
	s_delay_alu instid0(VALU_DEP_1) | instskip(NEXT) | instid1(VALU_DEP_1)
	v_fmac_f32_e32 v11, v13, v10
	v_fma_f32 v9, -v9, v11, v12
	s_delay_alu instid0(VALU_DEP_1) | instskip(NEXT) | instid1(VALU_DEP_1)
	v_div_fmas_f32 v9, v9, v10, v11
	v_div_fixup_f32 v5, v9, v5, v6
	s_delay_alu instid0(VALU_DEP_1) | instskip(NEXT) | instid1(VALU_DEP_1)
	v_sub_f32_e32 v5, v8, v5
	v_cmp_le_f32_e32 vcc_lo, v5, v7
	v_cmp_gt_f32_e64 s3, v5, -v7
	v_add_co_ci_u32_e64 v4, s0, 0, v4, vcc_lo
	s_delay_alu instid0(VALU_DEP_2)
	s_and_b32 s0, vcc_lo, s3
	s_add_u32 s22, s22, 4
	v_cndmask_b32_e64 v5, v5, -v7, s0
	s_addc_u32 s23, s23, 0
	s_add_u32 s18, s18, 4
	s_addc_u32 s19, s19, 0
	s_cmp_lg_u32 s33, 0
	s_cbranch_scc1 .LBB2_99
.LBB2_100:
	s_set_inst_prefetch_distance 0x2
	s_ashr_i32 s11, s10, 31
	v_mov_b32_e32 v0, 0
	s_lshl_b64 s[18:19], s[10:11], 2
	s_delay_alu instid0(SALU_CYCLE_1)
	s_add_u32 s22, s8, s18
	s_addc_u32 s23, s9, s19
	s_add_u32 s18, s16, s18
	s_addc_u32 s19, s17, s19
	s_clause 0x1
	global_store_b64 v0, v[1:2], s[22:23] offset:-8
	global_store_b64 v0, v[3:4], s[18:19] offset:-8
.LBB2_101:
	s_or_b32 exec_lo, exec_lo, s1
	s_waitcnt_vscnt null, 0x0
	s_barrier
	buffer_gl0_inv
	s_and_saveexec_b32 s3, s2
	s_cbranch_execz .LBB2_125
; %bb.102:
	s_cmp_gt_i32 s25, 0
	s_mov_b32 s0, 1
	s_cselect_b32 s30, -1, 0
	s_cmp_lt_i32 s25, 1
	s_cbranch_scc1 .LBB2_110
; %bb.103:
	s_cmp_lg_u64 s[12:13], 0
	v_mov_b32_e32 v0, 0
	s_cselect_b32 s11, -1, 0
	s_add_u32 s31, s8, -4
	s_addc_u32 s33, s9, -1
	s_add_u32 s39, s16, -4
	s_addc_u32 s40, s17, -1
	s_add_u32 s1, s14, s6
	s_addc_u32 s7, s15, s7
	s_add_u32 s6, s1, 4
	s_addc_u32 s7, s7, 0
	s_branch .LBB2_105
.LBB2_104:                              ;   in Loop: Header=BB2_105 Depth=1
	s_add_i32 s0, s0, 1
	s_add_u32 s6, s6, 4
	s_addc_u32 s7, s7, 0
	s_cmp_lg_u32 s0, s10
	s_cbranch_scc0 .LBB2_110
.LBB2_105:                              ; =>This Loop Header: Depth=1
                                        ;     Child Loop BB2_106 Depth 2
	s_ashr_i32 s1, s0, 31
	s_mov_b64 s[28:29], s[6:7]
	s_lshl_b64 s[18:19], s[0:1], 2
	s_add_i32 s1, s0, -1
	s_add_u32 s22, s31, s18
	s_addc_u32 s23, s33, s19
	s_mov_b32 s27, s0
	global_load_b32 v1, v0, s[22:23]
	s_mov_b32 s26, s1
	s_waitcnt vmcnt(0)
	v_mov_b32_e32 v2, v1
.LBB2_106:                              ;   Parent Loop BB2_105 Depth=1
                                        ; =>  This Inner Loop Header: Depth=2
	global_load_b32 v3, v0, s[28:29]
	s_waitcnt vmcnt(0)
	v_cmp_lt_f32_e32 vcc_lo, v3, v2
	s_and_b32 s41, vcc_lo, exec_lo
	v_cndmask_b32_e32 v2, v2, v3, vcc_lo
	s_cselect_b32 s26, s27, s26
	s_add_i32 s27, s27, 1
	s_add_u32 s28, s28, 4
	s_addc_u32 s29, s29, 0
	s_cmp_ge_i32 s27, s10
	s_cbranch_scc0 .LBB2_106
; %bb.107:                              ;   in Loop: Header=BB2_105 Depth=1
	s_cmp_lg_u32 s26, s1
	s_cbranch_scc0 .LBB2_104
; %bb.108:                              ;   in Loop: Header=BB2_105 Depth=1
	s_ashr_i32 s27, s26, 31
	s_delay_alu instid0(SALU_CYCLE_1) | instskip(NEXT) | instid1(SALU_CYCLE_1)
	s_lshl_b64 s[26:27], s[26:27], 2
	s_add_u32 s28, s8, s26
	s_addc_u32 s29, s9, s27
	s_and_not1_b32 vcc_lo, exec_lo, s11
	s_clause 0x1
	global_store_b32 v0, v1, s[28:29]
	global_store_b32 v0, v2, s[22:23]
	s_cbranch_vccnz .LBB2_104
; %bb.109:                              ;   in Loop: Header=BB2_105 Depth=1
	s_add_u32 s18, s39, s18
	s_addc_u32 s19, s40, s19
	s_add_u32 s22, s16, s26
	s_addc_u32 s23, s17, s27
	s_clause 0x1
	global_load_b32 v1, v0, s[18:19]
	global_load_b32 v2, v0, s[22:23]
	s_waitcnt vmcnt(1)
	global_store_b32 v0, v1, s[22:23]
	s_waitcnt vmcnt(0)
	global_store_b32 v0, v2, s[18:19]
	s_branch .LBB2_104
.LBB2_110:
	s_ashr_i32 s11, s10, 31
	v_mov_b32_e32 v1, 0
	s_lshl_b64 s[0:1], s[10:11], 2
	v_cvt_f32_i32_e32 v4, s25
	s_add_u32 s0, s8, s0
	s_addc_u32 s1, s9, s1
	s_clause 0x1
	global_load_b32 v2, v1, s[8:9]
	global_load_b32 v3, v1, s[0:1] offset:-4
	s_waitcnt vmcnt(0)
	v_cmp_lt_f32_e64 vcc_lo, |v2|, |v3|
	v_cndmask_b32_e32 v0, v2, v3, vcc_lo
	s_and_not1_b32 vcc_lo, exec_lo, s30
	s_delay_alu instid0(VALU_DEP_1) | instskip(SKIP_1) | instid1(VALU_DEP_2)
	v_mul_f32_e64 v5, |v0|, s38
	v_cndmask_b32_e64 v0, 0, 1, s30
	v_fma_f32 v2, -v5, v4, v2
	s_delay_alu instid0(VALU_DEP_1) | instskip(NEXT) | instid1(VALU_DEP_1)
	v_dual_fmac_f32 v3, v5, v4 :: v_dual_sub_f32 v2, v2, v7
	v_add_f32_e32 v3, v7, v3
	s_clause 0x1
	global_store_b32 v1, v2, s[8:9]
	global_store_b32 v1, v3, s[0:1] offset:-4
	s_cbranch_vccnz .LBB2_116
; %bb.111:
	s_max_i32 s7, s10, 2
	s_mov_b32 s11, 0
	s_add_i32 s7, s7, -1
	s_add_u32 s0, s12, s14
	s_addc_u32 s1, s13, s15
	s_add_u32 s0, s0, 4
	s_addc_u32 s1, s1, 0
	s_branch .LBB2_113
	.p2align	6
.LBB2_112:                              ;   in Loop: Header=BB2_113 Depth=1
	s_add_i32 s11, s11, 1
	s_add_u32 s0, s0, 4
	s_addc_u32 s1, s1, 0
	s_cmp_eq_u32 s7, s11
	s_mov_b32 s6, s7
	s_cselect_b32 s16, -1, 0
	s_delay_alu instid0(SALU_CYCLE_1)
	s_and_not1_b32 vcc_lo, exec_lo, s16
	s_cbranch_vccz .LBB2_115
.LBB2_113:                              ; =>This Inner Loop Header: Depth=1
	global_load_b32 v2, v1, s[0:1]
	s_waitcnt vmcnt(0)
	v_cmp_le_i32_e32 vcc_lo, s36, v2
	s_cbranch_vccz .LBB2_112
; %bb.114:
	s_mov_b32 s6, s11
                                        ; implicit-def: $sgpr0_sgpr1
.LBB2_115:
	s_mov_b32 s7, 0
	s_branch .LBB2_117
.LBB2_116:
	s_mov_b64 s[6:7], 0
.LBB2_117:
	s_delay_alu instid0(SALU_CYCLE_1)
	s_lshl_b64 s[0:1], s[6:7], 2
	v_mov_b32_e32 v2, 0
	s_add_u32 s0, s8, s0
	s_addc_u32 s1, s9, s1
	v_cmp_ne_u32_e32 vcc_lo, 1, v0
	s_mov_b32 s7, 1
	global_load_b32 v1, v2, s[0:1]
	s_cbranch_vccnz .LBB2_123
; %bb.118:
	s_max_i32 s10, s10, 2
	s_delay_alu instid0(SALU_CYCLE_1)
	s_add_i32 s11, s10, -1
	s_add_u32 s0, s12, s14
	s_addc_u32 s1, s13, s15
	s_add_u32 s0, s0, 4
	s_addc_u32 s1, s1, 0
	s_branch .LBB2_120
	.p2align	6
.LBB2_119:
	s_mov_b32 s6, s7
                                        ; implicit-def: $sgpr0_sgpr1
	s_branch .LBB2_122
.LBB2_120:                              ; =>This Inner Loop Header: Depth=1
	global_load_b32 v0, v2, s[0:1]
	s_waitcnt vmcnt(0)
	v_cmp_gt_i32_e32 vcc_lo, s37, v0
	s_cbranch_vccz .LBB2_119
; %bb.121:                              ;   in Loop: Header=BB2_120 Depth=1
	s_add_i32 s7, s7, 1
	s_add_u32 s0, s0, 4
	s_addc_u32 s1, s1, 0
	s_cmp_eq_u32 s10, s7
	s_mov_b32 s6, s11
	s_cselect_b32 s12, -1, 0
	s_delay_alu instid0(SALU_CYCLE_1)
	s_and_not1_b32 vcc_lo, exec_lo, s12
	s_cbranch_vccnz .LBB2_120
.LBB2_122:
	s_ashr_i32 s7, s6, 31
	s_branch .LBB2_124
.LBB2_123:
	s_mov_b64 s[6:7], 0
.LBB2_124:
	s_delay_alu instid0(SALU_CYCLE_1)
	s_lshl_b64 s[0:1], s[6:7], 2
	v_mov_b32_e32 v0, 0
	s_add_u32 s0, s8, s0
	s_addc_u32 s1, s9, s1
	global_load_b32 v2, v0, s[0:1]
.LBB2_125:
	s_or_b32 exec_lo, exec_lo, s3
	s_and_saveexec_b32 s0, s2
	s_cbranch_execz .LBB2_74
.LBB2_126:
	s_lshl_b64 s[0:1], s[34:35], 2
	v_mov_b32_e32 v0, 0
	s_add_u32 s0, s20, s0
	s_addc_u32 s1, s21, s1
	s_lshl_b32 s2, s34, 1
	s_delay_alu instid0(SALU_CYCLE_1) | instskip(NEXT) | instid1(SALU_CYCLE_1)
	s_ashr_i32 s3, s2, 31
	s_lshl_b64 s[2:3], s[2:3], 2
	s_delay_alu instid0(SALU_CYCLE_1)
	s_add_u32 s2, s4, s2
	s_addc_u32 s3, s5, s3
	s_cmpk_eq_i32 s24, 0xe7
	s_cselect_b32 s4, -1, 0
	s_waitcnt vmcnt(0)
	v_cndmask_b32_e64 v2, v2, 0, s4
	v_cndmask_b32_e64 v1, v1, 0, s4
	s_clause 0x1
	global_store_b32 v0, v7, s[0:1]
	global_store_b64 v0, v[1:2], s[2:3]
	s_nop 0
	s_sendmsg sendmsg(MSG_DEALLOC_VGPRS)
	s_endpgm
	.section	.rodata,"a",@progbits
	.p2align	6, 0x0
	.amdhsa_kernel _ZN9rocsolver6v33100L22stebz_splitting_kernelIfPfEEv15rocblas_erange_iT_S4_iiT0_iiS5_iiPiPS4_lS6_lS6_S7_S7_S7_S7_S6_S4_S4_
		.amdhsa_group_segment_fixed_size 2048
		.amdhsa_private_segment_fixed_size 0
		.amdhsa_kernarg_size 152
		.amdhsa_user_sgpr_count 14
		.amdhsa_user_sgpr_dispatch_ptr 0
		.amdhsa_user_sgpr_queue_ptr 0
		.amdhsa_user_sgpr_kernarg_segment_ptr 1
		.amdhsa_user_sgpr_dispatch_id 0
		.amdhsa_user_sgpr_private_segment_size 0
		.amdhsa_wavefront_size32 1
		.amdhsa_uses_dynamic_stack 0
		.amdhsa_enable_private_segment 0
		.amdhsa_system_sgpr_workgroup_id_x 1
		.amdhsa_system_sgpr_workgroup_id_y 1
		.amdhsa_system_sgpr_workgroup_id_z 0
		.amdhsa_system_sgpr_workgroup_info 0
		.amdhsa_system_vgpr_workitem_id 0
		.amdhsa_next_free_vgpr 20
		.amdhsa_next_free_sgpr 52
		.amdhsa_reserve_vcc 1
		.amdhsa_float_round_mode_32 0
		.amdhsa_float_round_mode_16_64 0
		.amdhsa_float_denorm_mode_32 3
		.amdhsa_float_denorm_mode_16_64 3
		.amdhsa_dx10_clamp 1
		.amdhsa_ieee_mode 1
		.amdhsa_fp16_overflow 0
		.amdhsa_workgroup_processor_mode 1
		.amdhsa_memory_ordered 1
		.amdhsa_forward_progress 0
		.amdhsa_shared_vgpr_count 0
		.amdhsa_exception_fp_ieee_invalid_op 0
		.amdhsa_exception_fp_denorm_src 0
		.amdhsa_exception_fp_ieee_div_zero 0
		.amdhsa_exception_fp_ieee_overflow 0
		.amdhsa_exception_fp_ieee_underflow 0
		.amdhsa_exception_fp_ieee_inexact 0
		.amdhsa_exception_int_div_zero 0
	.end_amdhsa_kernel
	.section	.text._ZN9rocsolver6v33100L22stebz_splitting_kernelIfPfEEv15rocblas_erange_iT_S4_iiT0_iiS5_iiPiPS4_lS6_lS6_S7_S7_S7_S7_S6_S4_S4_,"axG",@progbits,_ZN9rocsolver6v33100L22stebz_splitting_kernelIfPfEEv15rocblas_erange_iT_S4_iiT0_iiS5_iiPiPS4_lS6_lS6_S7_S7_S7_S7_S6_S4_S4_,comdat
.Lfunc_end2:
	.size	_ZN9rocsolver6v33100L22stebz_splitting_kernelIfPfEEv15rocblas_erange_iT_S4_iiT0_iiS5_iiPiPS4_lS6_lS6_S7_S7_S7_S7_S6_S4_S4_, .Lfunc_end2-_ZN9rocsolver6v33100L22stebz_splitting_kernelIfPfEEv15rocblas_erange_iT_S4_iiT0_iiS5_iiPiPS4_lS6_lS6_S7_S7_S7_S7_S6_S4_S4_
                                        ; -- End function
	.section	.AMDGPU.csdata,"",@progbits
; Kernel info:
; codeLenInByte = 6232
; NumSgprs: 54
; NumVgprs: 20
; ScratchSize: 0
; MemoryBound: 0
; FloatMode: 240
; IeeeMode: 1
; LDSByteSize: 2048 bytes/workgroup (compile time only)
; SGPRBlocks: 6
; VGPRBlocks: 2
; NumSGPRsForWavesPerEU: 54
; NumVGPRsForWavesPerEU: 20
; Occupancy: 16
; WaveLimiterHint : 1
; COMPUTE_PGM_RSRC2:SCRATCH_EN: 0
; COMPUTE_PGM_RSRC2:USER_SGPR: 14
; COMPUTE_PGM_RSRC2:TRAP_HANDLER: 0
; COMPUTE_PGM_RSRC2:TGID_X_EN: 1
; COMPUTE_PGM_RSRC2:TGID_Y_EN: 1
; COMPUTE_PGM_RSRC2:TGID_Z_EN: 0
; COMPUTE_PGM_RSRC2:TIDIG_COMP_CNT: 0
	.section	.text._ZN9rocsolver6v33100L22stebz_bisection_kernelIfPfEEv15rocblas_erange_iT_T0_iiS5_iiPiPS4_lS6_lS6_lS6_S6_S7_S7_S7_S7_S6_S4_S4_,"axG",@progbits,_ZN9rocsolver6v33100L22stebz_bisection_kernelIfPfEEv15rocblas_erange_iT_T0_iiS5_iiPiPS4_lS6_lS6_lS6_S6_S7_S7_S7_S7_S6_S4_S4_,comdat
	.globl	_ZN9rocsolver6v33100L22stebz_bisection_kernelIfPfEEv15rocblas_erange_iT_T0_iiS5_iiPiPS4_lS6_lS6_lS6_S6_S7_S7_S7_S7_S6_S4_S4_ ; -- Begin function _ZN9rocsolver6v33100L22stebz_bisection_kernelIfPfEEv15rocblas_erange_iT_T0_iiS5_iiPiPS4_lS6_lS6_lS6_S6_S7_S7_S7_S7_S6_S4_S4_
	.p2align	8
	.type	_ZN9rocsolver6v33100L22stebz_bisection_kernelIfPfEEv15rocblas_erange_iT_T0_iiS5_iiPiPS4_lS6_lS6_lS6_S6_S7_S7_S7_S7_S6_S4_S4_,@function
_ZN9rocsolver6v33100L22stebz_bisection_kernelIfPfEEv15rocblas_erange_iT_T0_iiS5_iiPiPS4_lS6_lS6_lS6_S6_S7_S7_S7_S7_S6_S4_S4_: ; @_ZN9rocsolver6v33100L22stebz_bisection_kernelIfPfEEv15rocblas_erange_iT_T0_iiS5_iiPiPS4_lS6_lS6_lS6_S6_S7_S7_S7_S7_S6_S4_S4_
; %bb.0:
	s_load_b512 s[16:31], s[0:1], 0x30
	s_mov_b32 s2, s15
	s_ashr_i32 s3, s15, 31
	s_delay_alu instid0(SALU_CYCLE_1)
	s_lshl_b64 s[12:13], s[2:3], 2
	s_waitcnt lgkmcnt(0)
	s_add_u32 s4, s16, s12
	s_addc_u32 s5, s17, s13
	s_load_b32 s33, s[4:5], 0x0
	s_waitcnt lgkmcnt(0)
	s_cmp_ge_i32 s14, s33
	s_cbranch_scc1 .LBB3_98
; %bb.1:
	s_clause 0x2
	s_load_b256 s[4:11], s[0:1], 0x0
	s_load_b128 s[44:47], s[0:1], 0x20
	s_load_b256 s[36:43], s[0:1], 0x70
	s_mul_i32 s15, s2, s21
	s_mul_hi_u32 s17, s2, s20
	s_mul_i32 s55, s3, s20
	s_mul_i32 s16, s2, s20
	;; [unrolled: 1-line block ×3, first 2 shown]
	v_lshl_or_b32 v9, v0, 2, 0x1000
                                        ; implicit-def: $vgpr16
                                        ; implicit-def: $vgpr17
                                        ; implicit-def: $vgpr18
                                        ; implicit-def: $vgpr19
                                        ; implicit-def: $vgpr20
	v_dual_mov_b32 v15, 1 :: v_dual_lshlrev_b32 v10, 4, v0
	s_delay_alu instid0(VALU_DEP_1)
	v_or_b32_e32 v12, 0x800, v10
	s_waitcnt lgkmcnt(0)
	s_mul_hi_i32 s35, s11, s2
	s_mul_i32 s34, s11, s2
	s_ashr_i32 s21, s10, 31
	s_lshl_b64 s[48:49], s[34:35], 2
	s_mov_b32 s20, s10
	s_add_u32 s7, s8, s48
	s_addc_u32 s11, s9, s49
	s_lshl_b64 s[50:51], s[20:21], 2
	s_mul_hi_i32 s35, s47, s2
	s_mul_i32 s34, s47, s2
	s_add_u32 s7, s7, s50
	s_addc_u32 s52, s11, s51
	s_lshl_b64 s[34:35], s[34:35], 2
	s_mov_b32 s10, s46
	s_ashr_i32 s11, s46, 31
	s_add_u32 s20, s44, s34
	s_addc_u32 s21, s45, s35
	s_lshl_b64 s[46:47], s[10:11], 2
	s_delay_alu instid0(SALU_CYCLE_1)
	s_add_u32 s53, s20, s46
	s_addc_u32 s54, s21, s47
	s_add_i32 s10, s17, s15
	s_mul_hi_u32 s15, s2, s24
	s_add_i32 s17, s10, s55
	s_mul_i32 s20, s3, s24
	s_lshl_b64 s[10:11], s[16:17], 2
	s_mul_i32 s16, s2, s24
	s_add_u32 s55, s18, s10
	s_addc_u32 s56, s19, s11
	s_add_i32 s10, s15, s25
	s_mul_i32 s15, s2, s29
	s_add_i32 s17, s10, s20
	s_mul_hi_u32 s18, s2, s28
	s_lshl_b64 s[10:11], s[16:17], 2
	s_mul_i32 s3, s3, s28
	s_add_u32 s57, s22, s10
	s_addc_u32 s58, s23, s11
	s_add_i32 s11, s18, s15
	s_mul_i32 s10, s2, s28
	s_add_i32 s11, s11, s3
	s_delay_alu instid0(SALU_CYCLE_1) | instskip(NEXT) | instid1(SALU_CYCLE_1)
	s_lshl_b64 s[10:11], s[10:11], 2
	s_add_u32 s59, s26, s10
	s_addc_u32 s60, s27, s11
	s_add_i32 s3, s5, -1
	s_delay_alu instid0(SALU_CYCLE_1) | instskip(NEXT) | instid1(SALU_CYCLE_1)
	s_mul_i32 s10, s3, s2
	s_ashr_i32 s11, s10, 31
	s_delay_alu instid0(SALU_CYCLE_1) | instskip(NEXT) | instid1(SALU_CYCLE_1)
	s_lshl_b64 s[10:11], s[10:11], 2
	s_add_u32 s40, s40, s10
	s_addc_u32 s41, s41, s11
	s_lshl_b32 s10, s2, 1
	s_mul_i32 s2, s2, s5
	s_ashr_i32 s11, s10, 31
	s_delay_alu instid0(SALU_CYCLE_1) | instskip(NEXT) | instid1(SALU_CYCLE_1)
	s_lshl_b64 s[10:11], s[10:11], 2
	s_add_u32 s10, s42, s10
	s_addc_u32 s11, s43, s11
	s_add_u32 s16, s38, s12
	s_addc_u32 s17, s39, s13
	s_load_b32 s38, s[16:17], 0x0
	s_clause 0x1
	s_load_b128 s[16:19], s[0:1], 0x90
	s_load_b32 s39, s[0:1], 0xa0
	s_add_u32 s12, s30, s12
	s_addc_u32 s13, s31, s13
	s_lshl_b32 s20, s2, 2
	v_cmp_eq_u32_e64 s0, 0, v0
	s_ashr_i32 s21, s20, 31
	v_cmp_ne_u32_e64 s1, 0, v0
	s_lshl_b64 s[22:23], s[20:21], 2
	s_mov_b32 s20, 0xfefa39ef
	s_mov_b32 s21, 0x3fe62e42
	s_waitcnt lgkmcnt(0)
	v_cmp_gt_f32_e64 s15, 0x800000, s38
	s_add_u32 s42, s16, s22
	s_addc_u32 s43, s17, s23
	s_add_u32 s61, s18, s22
	s_addc_u32 s62, s19, s23
	v_cndmask_b32_e64 v1, 1.0, 0x4f800000, s15
	s_ashr_i32 s3, s2, 31
	v_add_f32_e64 v13, s39, s39
	s_lshl_b64 s[16:17], s[2:3], 2
	v_cmp_lt_f32_e64 s2, s6, 0
	v_mul_f32_e32 v1, s38, v1
	s_add_u32 s36, s36, s16
	s_addc_u32 s37, s37, s17
	s_cmpk_lg_i32 s4, 0xe7
	s_delay_alu instid0(VALU_DEP_1)
	v_log_f32_e32 v1, v1
	v_mov_b32_e32 v11, 0
	s_cselect_b32 s63, -1, 0
	s_add_u32 s64, s59, -4
	s_addc_u32 s65, s60, -1
	s_add_u32 s3, s48, s50
	s_addc_u32 s4, s49, s51
	s_add_u32 s3, s3, s8
	s_addc_u32 s4, s4, s9
	s_add_u32 s48, s3, 4
	s_waitcnt_depctr 0xfff
	v_mul_f32_e32 v2, 0x3f317217, v1
	v_cmp_gt_f32_e64 vcc_lo, 0x7f800000, |v1|
	s_addc_u32 s49, s4, 0
	s_add_u32 s3, s34, s46
	s_addc_u32 s4, s35, s47
	v_fma_f32 v3, 0x3f317217, v1, -v2
	s_add_u32 s3, s3, s44
	s_addc_u32 s4, s4, s45
	s_add_u32 s34, s3, 4
	s_addc_u32 s35, s4, 0
	v_fmac_f32_e32 v3, 0x3377d1cf, v1
	s_delay_alu instid0(VALU_DEP_1) | instskip(SKIP_1) | instid1(VALU_DEP_2)
	v_add_f32_e32 v2, v2, v3
	v_cndmask_b32_e64 v3, 0, 0x41b17218, s15
	v_cndmask_b32_e32 v1, v1, v2, vcc_lo
	s_delay_alu instid0(VALU_DEP_1)
	v_sub_f32_e32 v14, v1, v3
	s_branch .LBB3_4
.LBB3_2:                                ;   in Loop: Header=BB3_4 Depth=1
	s_or_b32 exec_lo, exec_lo, s3
	v_dual_mov_b32 v4, v20 :: v_dual_mov_b32 v23, v19
	v_dual_mov_b32 v21, v18 :: v_dual_mov_b32 v24, v17
	v_mov_b32_e32 v22, v16
.LBB3_3:                                ;   in Loop: Header=BB3_4 Depth=1
	s_delay_alu instid0(VALU_DEP_1) | instskip(NEXT) | instid1(VALU_DEP_3)
	v_dual_mov_b32 v16, v22 :: v_dual_mov_b32 v17, v24
	v_dual_mov_b32 v18, v21 :: v_dual_mov_b32 v19, v23
	v_mov_b32_e32 v20, v4
	s_add_i32 s14, s14, 64
	s_waitcnt vmcnt(0)
	s_waitcnt_vscnt null, 0x0
	s_cmp_lt_i32 s14, s33
	s_barrier
	buffer_gl0_inv
	s_cbranch_scc0 .LBB3_98
.LBB3_4:                                ; =>This Loop Header: Depth=1
                                        ;     Child Loop BB3_9 Depth 2
                                        ;     Child Loop BB3_22 Depth 2
	;; [unrolled: 1-line block ×4, first 2 shown]
                                        ;       Child Loop BB3_42 Depth 3
                                        ;         Child Loop BB3_45 Depth 4
                                        ;         Child Loop BB3_58 Depth 4
                                        ;     Child Loop BB3_77 Depth 2
                                        ;       Child Loop BB3_79 Depth 3
	s_ashr_i32 s15, s14, 31
	s_cmp_eq_u32 s14, 0
	s_mov_b32 s16, 0
	s_cbranch_scc1 .LBB3_6
; %bb.5:                                ;   in Loop: Header=BB3_4 Depth=1
	s_lshl_b64 s[8:9], s[14:15], 2
	s_delay_alu instid0(SALU_CYCLE_1)
	s_add_u32 s8, s64, s8
	s_addc_u32 s9, s65, s9
	global_load_b32 v1, v11, s[8:9]
	s_waitcnt vmcnt(0)
	v_readfirstlane_b32 s16, v1
.LBB3_6:                                ;   in Loop: Header=BB3_4 Depth=1
	s_lshl_b64 s[8:9], s[14:15], 2
	s_delay_alu instid0(SALU_CYCLE_1) | instskip(SKIP_4) | instid1(VALU_DEP_1)
	s_add_u32 s18, s59, s8
	s_addc_u32 s19, s60, s9
	global_load_b32 v1, v11, s[18:19]
	s_waitcnt vmcnt(0)
	v_readfirstlane_b32 s3, v1
	s_sub_i32 s4, s3, s16
	s_delay_alu instid0(SALU_CYCLE_1)
	s_cmp_lg_u32 s4, 1
	s_cbranch_scc0 .LBB3_16
; %bb.7:                                ;   in Loop: Header=BB3_4 Depth=1
	s_ashr_i32 s17, s16, 31
	s_delay_alu instid0(SALU_CYCLE_1) | instskip(NEXT) | instid1(SALU_CYCLE_1)
	s_lshl_b64 s[24:25], s[16:17], 2
	s_add_u32 s18, s7, s24
	s_addc_u32 s19, s52, s25
	s_add_u32 s22, s53, s24
	s_addc_u32 s23, s54, s25
	s_cmp_lt_i32 s4, 3
	s_clause 0x1
	global_load_b32 v1, v11, s[22:23]
	global_load_b32 v6, v11, s[18:19]
	s_waitcnt vmcnt(1)
	v_and_b32_e32 v3, 0x7fffffff, v1
	s_waitcnt vmcnt(0)
	v_sub_f32_e64 v2, v6, |v1|
	v_add_f32_e64 v1, v6, |v1|
	s_cbranch_scc1 .LBB3_10
; %bb.8:                                ;   in Loop: Header=BB3_4 Depth=1
	s_add_i32 s3, s4, -2
	s_add_u32 s22, s48, s24
	s_addc_u32 s23, s49, s25
	s_add_u32 s26, s34, s24
	s_addc_u32 s27, s35, s25
	.p2align	6
.LBB3_9:                                ;   Parent Loop BB3_4 Depth=1
                                        ; =>  This Inner Loop Header: Depth=2
	s_clause 0x1
	global_load_b32 v4, v11, s[22:23]
	global_load_b32 v5, v11, s[26:27]
	s_add_i32 s3, s3, -1
	s_add_u32 s22, s22, 4
	s_addc_u32 s23, s23, 0
	s_add_u32 s26, s26, 4
	s_addc_u32 s27, s27, 0
	s_cmp_lg_u32 s3, 0
	s_waitcnt vmcnt(1)
	v_sub_f32_e32 v7, v4, v3
	v_add_f32_e32 v3, v3, v4
	s_waitcnt vmcnt(0)
	s_delay_alu instid0(VALU_DEP_2) | instskip(NEXT) | instid1(VALU_DEP_2)
	v_sub_f32_e64 v4, v7, |v5|
	v_add_f32_e64 v7, v3, |v5|
	v_and_b32_e32 v3, 0x7fffffff, v5
	s_delay_alu instid0(VALU_DEP_3) | instskip(SKIP_1) | instid1(VALU_DEP_4)
	v_cmp_lt_f32_e32 vcc_lo, v4, v2
	v_cndmask_b32_e32 v2, v2, v4, vcc_lo
	v_cmp_lt_f32_e32 vcc_lo, v1, v7
	v_cndmask_b32_e32 v1, v1, v7, vcc_lo
	s_cbranch_scc1 .LBB3_9
.LBB3_10:                               ;   in Loop: Header=BB3_4 Depth=1
	s_add_i32 s22, s4, -1
	s_delay_alu instid0(SALU_CYCLE_1) | instskip(NEXT) | instid1(SALU_CYCLE_1)
	s_ashr_i32 s23, s22, 31
	s_lshl_b64 s[26:27], s[22:23], 2
	s_delay_alu instid0(SALU_CYCLE_1) | instskip(SKIP_4) | instid1(VALU_DEP_1)
	s_add_u32 s26, s18, s26
	s_addc_u32 s27, s19, s27
	global_load_b32 v4, v11, s[26:27]
	s_waitcnt vmcnt(0)
	v_sub_f32_e32 v5, v4, v3
	v_cmp_lt_f32_e32 vcc_lo, v5, v2
	v_add_f32_e32 v3, v3, v4
	v_cvt_f32_i32_e32 v4, s4
	v_cndmask_b32_e32 v2, v2, v5, vcc_lo
	s_delay_alu instid0(VALU_DEP_3) | instskip(SKIP_1) | instid1(VALU_DEP_1)
	v_cmp_lt_f32_e32 vcc_lo, v1, v3
	v_cndmask_b32_e32 v3, v1, v3, vcc_lo
	v_cmp_lt_f32_e64 vcc_lo, |v2|, |v3|
	v_cndmask_b32_e32 v1, v2, v3, vcc_lo
	s_and_not1_b32 vcc_lo, exec_lo, s63
	s_delay_alu instid0(VALU_DEP_1) | instskip(NEXT) | instid1(VALU_DEP_1)
	v_mul_f32_e64 v5, |v1|, s39
	v_fma_f32 v1, -v5, v4, v2
	v_fmac_f32_e32 v3, v5, v4
	s_delay_alu instid0(VALU_DEP_1)
	v_dual_subrev_f32 v1, s38, v1 :: v_dual_add_f32 v2, s38, v3
	s_cbranch_vccnz .LBB3_12
; %bb.11:                               ;   in Loop: Header=BB3_4 Depth=1
	global_load_b64 v[3:4], v11, s[10:11]
	s_waitcnt vmcnt(0)
	v_cmp_lt_f32_e32 vcc_lo, v1, v3
	v_cndmask_b32_e32 v1, v1, v3, vcc_lo
	v_cmp_lt_f32_e32 vcc_lo, v4, v2
	v_cndmask_b32_e32 v2, v2, v4, vcc_lo
.LBB3_12:                               ;   in Loop: Header=BB3_4 Depth=1
	s_delay_alu instid0(VALU_DEP_1)
	v_cmp_nlt_f32_e32 vcc_lo, v1, v2
	s_cbranch_vccz .LBB3_17
; %bb.13:                               ;   in Loop: Header=BB3_4 Depth=1
	s_and_saveexec_b32 s3, s0
	s_cbranch_execz .LBB3_15
; %bb.14:                               ;   in Loop: Header=BB3_4 Depth=1
	s_add_u32 s26, s36, s8
	s_addc_u32 s27, s37, s9
	ds_store_b16 v11, v11 offset:4612
	global_store_b32 v11, v11, s[26:27]
.LBB3_15:                               ;   in Loop: Header=BB3_4 Depth=1
	s_or_b32 exec_lo, exec_lo, s3
	s_mov_b32 s3, 0
	s_branch .LBB3_18
.LBB3_16:                               ;   in Loop: Header=BB3_4 Depth=1
                                        ; implicit-def: $vgpr22
                                        ; implicit-def: $vgpr24
                                        ; implicit-def: $vgpr21
                                        ; implicit-def: $vgpr23
                                        ; implicit-def: $vgpr4
	s_cbranch_execz .LBB3_3
	s_branch .LBB3_89
.LBB3_17:                               ;   in Loop: Header=BB3_4 Depth=1
	s_mov_b32 s3, -1
.LBB3_18:                               ;   in Loop: Header=BB3_4 Depth=1
	v_dual_mov_b32 v4, v20 :: v_dual_mov_b32 v23, v19
	v_dual_mov_b32 v21, v18 :: v_dual_mov_b32 v22, v16
	s_and_not1_b32 vcc_lo, exec_lo, s3
	s_cbranch_vccnz .LBB3_32
; %bb.19:                               ;   in Loop: Header=BB3_4 Depth=1
	v_sub_f32_e32 v3, v2, v1
	s_delay_alu instid0(VALU_DEP_1) | instskip(NEXT) | instid1(VALU_DEP_1)
	v_add_f32_e32 v3, s38, v3
	v_cmp_gt_f32_e32 vcc_lo, 0x800000, v3
	v_cndmask_b32_e64 v4, 1.0, 0x4f800000, vcc_lo
	s_delay_alu instid0(VALU_DEP_1) | instskip(NEXT) | instid1(VALU_DEP_1)
	v_mul_f32_e32 v3, v3, v4
	v_log_f32_e32 v3, v3
	s_waitcnt_depctr 0xfff
	v_mul_f32_e32 v4, 0x3f317217, v3
	s_delay_alu instid0(VALU_DEP_1) | instskip(NEXT) | instid1(VALU_DEP_1)
	v_fma_f32 v7, 0x3f317217, v3, -v4
	v_fmac_f32_e32 v7, 0x3377d1cf, v3
	s_delay_alu instid0(VALU_DEP_1) | instskip(SKIP_2) | instid1(VALU_DEP_3)
	v_add_f32_e32 v4, v4, v7
	v_cndmask_b32_e64 v7, 0, 0x41b17218, vcc_lo
	v_cmp_gt_f32_e64 vcc_lo, 0x7f800000, |v3|
	v_cndmask_b32_e32 v3, v3, v4, vcc_lo
	s_delay_alu instid0(VALU_DEP_1) | instskip(NEXT) | instid1(VALU_DEP_1)
	v_sub_f32_e32 v3, v3, v7
	v_sub_f32_e32 v3, v3, v14
	s_delay_alu instid0(VALU_DEP_1) | instskip(NEXT) | instid1(VALU_DEP_1)
	v_cvt_f64_f32_e32 v[3:4], v3
	v_div_scale_f64 v[7:8], null, s[20:21], s[20:21], v[3:4]
	v_div_scale_f64 v[25:26], vcc_lo, v[3:4], s[20:21], v[3:4]
	s_delay_alu instid0(VALU_DEP_2) | instskip(SKIP_2) | instid1(VALU_DEP_1)
	v_rcp_f64_e32 v[21:22], v[7:8]
	s_waitcnt_depctr 0xfff
	v_fma_f64 v[23:24], -v[7:8], v[21:22], 1.0
	v_fma_f64 v[21:22], v[21:22], v[23:24], v[21:22]
	s_delay_alu instid0(VALU_DEP_1) | instskip(NEXT) | instid1(VALU_DEP_1)
	v_fma_f64 v[23:24], -v[7:8], v[21:22], 1.0
	v_fma_f64 v[21:22], v[21:22], v[23:24], v[21:22]
	s_delay_alu instid0(VALU_DEP_1) | instskip(NEXT) | instid1(VALU_DEP_1)
	v_mul_f64 v[23:24], v[25:26], v[21:22]
	v_fma_f64 v[7:8], -v[7:8], v[23:24], v[25:26]
	s_delay_alu instid0(VALU_DEP_1) | instskip(SKIP_1) | instid1(VALU_DEP_2)
	v_div_fmas_f64 v[7:8], v[7:8], v[21:22], v[23:24]
	v_dual_mov_b32 v22, 0 :: v_dual_mov_b32 v23, 1
	v_div_fixup_f64 v[3:4], v[7:8], s[20:21], v[3:4]
	s_delay_alu instid0(VALU_DEP_1) | instskip(NEXT) | instid1(VALU_DEP_1)
	v_cvt_i32_f64_e32 v3, v[3:4]
	v_dual_mov_b32 v4, v20 :: v_dual_add_nc_u32 v21, 2, v3
	s_and_saveexec_b32 s15, s0
	s_cbranch_execz .LBB3_31
; %bb.20:                               ;   in Loop: Header=BB3_4 Depth=1
	v_sub_f32_e32 v4, v6, v1
	s_add_u32 s26, s40, s24
	s_addc_u32 s27, s41, s25
	s_cmp_gt_i32 s4, 1
	ds_store_b8 v11, v11 offset:4613
	v_cmp_ge_f32_e32 vcc_lo, s38, v4
	s_cselect_b32 s17, -1, 0
	s_cmp_lt_i32 s4, 2
	v_cndmask_b32_e64 v3, 0, 1, vcc_lo
	s_cbranch_scc1 .LBB3_23
; %bb.21:                               ;   in Loop: Header=BB3_4 Depth=1
	v_cmp_gt_f32_e64 s3, v4, -s38
	s_mov_b64 s[30:31], s[26:27]
	s_mov_b32 s23, s22
	s_delay_alu instid0(VALU_DEP_1)
	s_and_b32 s3, vcc_lo, s3
	s_add_u32 s28, s48, s24
	v_cndmask_b32_e64 v4, v4, -s38, s3
	s_addc_u32 s29, s49, s25
	s_set_inst_prefetch_distance 0x1
	.p2align	6
.LBB3_22:                               ;   Parent Loop BB3_4 Depth=1
                                        ; =>  This Inner Loop Header: Depth=2
	s_clause 0x1
	global_load_b32 v7, v11, s[30:31]
	global_load_b32 v8, v11, s[28:29]
	s_add_i32 s23, s23, -1
	s_waitcnt vmcnt(1)
	v_div_scale_f32 v22, null, v4, v4, v7
	v_div_scale_f32 v25, vcc_lo, v7, v4, v7
	s_waitcnt vmcnt(0)
	v_sub_f32_e32 v8, v8, v1
	s_delay_alu instid0(VALU_DEP_3) | instskip(SKIP_2) | instid1(VALU_DEP_1)
	v_rcp_f32_e32 v23, v22
	s_waitcnt_depctr 0xfff
	v_fma_f32 v24, -v22, v23, 1.0
	v_fmac_f32_e32 v23, v24, v23
	s_delay_alu instid0(VALU_DEP_1) | instskip(NEXT) | instid1(VALU_DEP_1)
	v_mul_f32_e32 v24, v25, v23
	v_fma_f32 v26, -v22, v24, v25
	s_delay_alu instid0(VALU_DEP_1) | instskip(NEXT) | instid1(VALU_DEP_1)
	v_fmac_f32_e32 v24, v26, v23
	v_fma_f32 v22, -v22, v24, v25
	s_delay_alu instid0(VALU_DEP_1) | instskip(NEXT) | instid1(VALU_DEP_1)
	v_div_fmas_f32 v22, v22, v23, v24
	v_div_fixup_f32 v4, v22, v4, v7
	s_delay_alu instid0(VALU_DEP_1) | instskip(NEXT) | instid1(VALU_DEP_1)
	v_sub_f32_e32 v4, v8, v4
	v_cmp_ge_f32_e32 vcc_lo, s38, v4
	v_cmp_gt_f32_e64 s44, v4, -s38
	v_add_co_ci_u32_e64 v3, s3, 0, v3, vcc_lo
	s_delay_alu instid0(VALU_DEP_2)
	s_and_b32 s3, vcc_lo, s44
	s_add_u32 s30, s30, 4
	v_cndmask_b32_e64 v4, v4, -s38, s3
	s_addc_u32 s31, s31, 0
	s_add_u32 s28, s28, 4
	s_addc_u32 s29, s29, 0
	s_cmp_lg_u32 s23, 0
	s_cbranch_scc1 .LBB3_22
.LBB3_23:                               ;   in Loop: Header=BB3_4 Depth=1
	s_set_inst_prefetch_distance 0x2
	v_sub_f32_e32 v6, v6, v2
	s_and_not1_b32 vcc_lo, exec_lo, s17
	s_delay_alu instid0(VALU_DEP_1) | instskip(NEXT) | instid1(VALU_DEP_1)
	v_cmp_ge_f32_e64 s3, s38, v6
	v_cndmask_b32_e64 v4, 0, 1, s3
	s_cbranch_vccnz .LBB3_26
; %bb.24:                               ;   in Loop: Header=BB3_4 Depth=1
	v_cmp_gt_f32_e64 s17, v6, -s38
	s_delay_alu instid0(VALU_DEP_1)
	s_and_b32 s3, s3, s17
	s_add_u32 s28, s48, s24
	v_cndmask_b32_e64 v6, v6, -s38, s3
	s_addc_u32 s29, s49, s25
	s_mov_b32 s17, s22
	s_set_inst_prefetch_distance 0x1
	.p2align	6
.LBB3_25:                               ;   Parent Loop BB3_4 Depth=1
                                        ; =>  This Inner Loop Header: Depth=2
	s_clause 0x1
	global_load_b32 v7, v11, s[26:27]
	global_load_b32 v8, v11, s[28:29]
	s_add_i32 s17, s17, -1
	s_waitcnt vmcnt(1)
	v_div_scale_f32 v22, null, v6, v6, v7
	v_div_scale_f32 v25, vcc_lo, v7, v6, v7
	s_waitcnt vmcnt(0)
	v_sub_f32_e32 v8, v8, v2
	s_delay_alu instid0(VALU_DEP_3) | instskip(SKIP_2) | instid1(VALU_DEP_1)
	v_rcp_f32_e32 v23, v22
	s_waitcnt_depctr 0xfff
	v_fma_f32 v24, -v22, v23, 1.0
	v_fmac_f32_e32 v23, v24, v23
	s_delay_alu instid0(VALU_DEP_1) | instskip(NEXT) | instid1(VALU_DEP_1)
	v_mul_f32_e32 v24, v25, v23
	v_fma_f32 v26, -v22, v24, v25
	s_delay_alu instid0(VALU_DEP_1) | instskip(NEXT) | instid1(VALU_DEP_1)
	v_fmac_f32_e32 v24, v26, v23
	v_fma_f32 v22, -v22, v24, v25
	s_delay_alu instid0(VALU_DEP_1) | instskip(NEXT) | instid1(VALU_DEP_1)
	v_div_fmas_f32 v22, v22, v23, v24
	v_div_fixup_f32 v6, v22, v6, v7
	s_delay_alu instid0(VALU_DEP_1) | instskip(NEXT) | instid1(VALU_DEP_1)
	v_sub_f32_e32 v6, v8, v6
	v_cmp_ge_f32_e32 vcc_lo, s38, v6
	v_cmp_gt_f32_e64 s23, v6, -s38
	v_add_co_ci_u32_e64 v4, s3, 0, v4, vcc_lo
	s_delay_alu instid0(VALU_DEP_2)
	s_and_b32 s3, vcc_lo, s23
	s_add_u32 s26, s26, 4
	v_cndmask_b32_e64 v6, v6, -s38, s3
	s_addc_u32 s27, s27, 0
	s_add_u32 s28, s28, 4
	s_addc_u32 s29, s29, 0
	s_cmp_lg_u32 s17, 0
	s_cbranch_scc1 .LBB3_25
.LBB3_26:                               ;   in Loop: Header=BB3_4 Depth=1
	s_set_inst_prefetch_distance 0x2
	s_delay_alu instid0(VALU_DEP_1) | instskip(NEXT) | instid1(VALU_DEP_1)
	v_sub_nc_u32_e32 v6, v4, v3
	v_cmp_gt_i32_e32 vcc_lo, 1, v6
	s_cbranch_vccz .LBB3_28
; %bb.27:                               ;   in Loop: Header=BB3_4 Depth=1
	s_add_u32 s26, s36, s8
	s_addc_u32 s27, s37, s9
	s_mov_b32 s3, 1
	s_mov_b32 s17, 0
	ds_store_b8 v11, v11 offset:4612
	global_store_b32 v11, v11, s[26:27]
	s_cbranch_execz .LBB3_29
	s_branch .LBB3_30
.LBB3_28:                               ;   in Loop: Header=BB3_4 Depth=1
                                        ; implicit-def: $sgpr17
                                        ; implicit-def: $sgpr3
.LBB3_29:                               ;   in Loop: Header=BB3_4 Depth=1
	s_add_i32 s3, s16, s5
	s_mov_b32 s17, 0
	s_lshl_b32 s26, s3, 1
	s_mov_b32 s3, 1
	s_ashr_i32 s27, s26, 31
	ds_store_b8 v11, v15 offset:4612
	s_lshl_b64 s[26:27], s[26:27], 2
	s_delay_alu instid0(SALU_CYCLE_1)
	s_add_u32 s28, s42, s26
	s_addc_u32 s29, s43, s27
	s_add_u32 s30, s36, s8
	s_addc_u32 s31, s37, s9
	;; [unrolled: 2-line block ×3, first 2 shown]
	s_clause 0x2
	global_store_b64 v11, v[1:2], s[28:29]
	global_store_b32 v11, v6, s[30:31]
	global_store_b64 v11, v[3:4], s[26:27]
.LBB3_30:                               ;   in Loop: Header=BB3_4 Depth=1
	v_dual_mov_b32 v22, s17 :: v_dual_mov_b32 v23, s3
.LBB3_31:                               ;   in Loop: Header=BB3_4 Depth=1
	s_or_b32 exec_lo, exec_lo, s15
.LBB3_32:                               ;   in Loop: Header=BB3_4 Depth=1
	s_waitcnt lgkmcnt(0)
	s_waitcnt_vscnt null, 0x0
	s_barrier
	buffer_gl0_inv
	ds_load_u8 v1, v11 offset:4612
	s_mov_b32 s3, 0
	s_waitcnt lgkmcnt(0)
	v_cmp_eq_u32_e32 vcc_lo, 0, v1
	s_cbranch_vccnz .LBB3_71
; %bb.33:                               ;   in Loop: Header=BB3_4 Depth=1
	ds_load_u8 v1, v11 offset:4613
	v_cmp_lt_i32_e32 vcc_lo, v22, v21
	v_mov_b32_e32 v24, v17
	s_waitcnt lgkmcnt(0)
	v_readfirstlane_b32 s3, v1
	s_delay_alu instid0(VALU_DEP_1) | instskip(SKIP_1) | instid1(SALU_CYCLE_1)
	s_bitcmp1_b32 s3, 0
	s_cselect_b32 s3, -1, 0
	s_xor_b32 s15, s3, -1
	s_mov_b32 s3, -1
	s_and_b32 s17, s15, vcc_lo
	s_delay_alu instid0(SALU_CYCLE_1)
	s_and_saveexec_b32 s15, s17
	s_cbranch_execz .LBB3_73
; %bb.34:                               ;   in Loop: Header=BB3_4 Depth=1
	v_cndmask_b32_e64 v1, s6, v5, s2
	s_add_i32 s3, s16, s5
	s_mov_b32 s45, 0
	s_lshl_b32 s17, s3, 1
	s_cmp_gt_i32 s4, 1
	v_cmp_gt_f32_e32 vcc_lo, s38, v1
	s_cselect_b32 s23, -1, 0
	s_lshl_b32 s44, s16, 1
	s_add_u32 s26, s40, s24
	s_addc_u32 s27, s41, s25
	v_cndmask_b32_e64 v25, v1, s38, vcc_lo
	s_add_u32 s24, s48, s24
	s_addc_u32 s25, s49, s25
                                        ; implicit-def: $sgpr46
	s_branch .LBB3_37
.LBB3_35:                               ;   in Loop: Header=BB3_37 Depth=2
	ds_load_u8 v1, v11 offset:4613
	v_cmp_ge_i32_e64 s3, v22, v21
	s_waitcnt lgkmcnt(0)
	v_and_b32_e32 v1, 1, v1
	s_delay_alu instid0(VALU_DEP_1) | instskip(NEXT) | instid1(VALU_DEP_3)
	v_cmp_eq_u32_e32 vcc_lo, 1, v1
	s_or_b32 s4, vcc_lo, s3
	s_mov_b32 s3, -1
	s_or_not1_b32 s4, s4, exec_lo
.LBB3_36:                               ;   in Loop: Header=BB3_37 Depth=2
	s_delay_alu instid0(SALU_CYCLE_1) | instskip(NEXT) | instid1(SALU_CYCLE_1)
	s_and_b32 s4, exec_lo, s4
	s_or_b32 s45, s4, s45
	s_and_not1_b32 s4, s46, exec_lo
	s_and_b32 s3, s3, exec_lo
	s_delay_alu instid0(SALU_CYCLE_1)
	s_or_b32 s46, s4, s3
	s_and_not1_b32 exec_lo, exec_lo, s45
	s_cbranch_execz .LBB3_72
.LBB3_37:                               ;   Parent Loop BB3_4 Depth=1
                                        ; =>  This Loop Header: Depth=2
                                        ;       Child Loop BB3_42 Depth 3
                                        ;         Child Loop BB3_45 Depth 4
                                        ;         Child Loop BB3_58 Depth 4
	s_and_saveexec_b32 s3, s0
	s_cbranch_execz .LBB3_39
; %bb.38:                               ;   in Loop: Header=BB3_37 Depth=2
	ds_store_b32 v11, v11 offset:4608
.LBB3_39:                               ;   in Loop: Header=BB3_37 Depth=2
	s_or_b32 exec_lo, exec_lo, s3
	v_dual_mov_b32 v2, s44 :: v_dual_and_b32 v1, 1, v22
	s_mov_b32 s47, exec_lo
	s_delay_alu instid0(VALU_DEP_1) | instskip(NEXT) | instid1(VALU_DEP_2)
	v_cmp_eq_u32_e32 vcc_lo, 0, v1
	v_cndmask_b32_e32 v24, s17, v2, vcc_lo
	v_cmpx_lt_i32_e32 0, v23
	s_cbranch_execz .LBB3_66
; %bb.40:                               ;   in Loop: Header=BB3_37 Depth=2
	v_mov_b32_e32 v1, s17
	s_mov_b32 s50, 0
	s_mov_b32 s51, 0
	s_delay_alu instid0(VALU_DEP_1)
	v_cndmask_b32_e32 v26, s44, v1, vcc_lo
	s_branch .LBB3_42
.LBB3_41:                               ;   in Loop: Header=BB3_42 Depth=3
	s_or_b32 exec_lo, exec_lo, s3
	s_addk_i32 s51, 0x80
	s_waitcnt lgkmcnt(0)
	v_cmp_ge_i32_e32 vcc_lo, s51, v23
	s_barrier
	buffer_gl0_inv
	s_or_b32 s50, vcc_lo, s50
	s_delay_alu instid0(SALU_CYCLE_1)
	s_and_not1_b32 exec_lo, exec_lo, s50
	s_cbranch_execz .LBB3_65
.LBB3_42:                               ;   Parent Loop BB3_4 Depth=1
                                        ;     Parent Loop BB3_37 Depth=2
                                        ; =>    This Loop Header: Depth=3
                                        ;         Child Loop BB3_45 Depth 4
                                        ;         Child Loop BB3_58 Depth 4
	v_add_nc_u32_e32 v1, s51, v0
	s_delay_alu instid0(VALU_DEP_1) | instskip(NEXT) | instid1(VALU_DEP_1)
	v_cmp_lt_i32_e64 s3, v1, v23
	s_and_saveexec_b32 s66, s3
	s_cbranch_execz .LBB3_55
; %bb.43:                               ;   in Loop: Header=BB3_42 Depth=3
	v_lshl_add_u32 v1, v1, 1, v26
	s_delay_alu instid0(VALU_DEP_1) | instskip(NEXT) | instid1(VALU_DEP_1)
	v_ashrrev_i32_e32 v2, 31, v1
	v_lshlrev_b64 v[3:4], 2, v[1:2]
	s_delay_alu instid0(VALU_DEP_1) | instskip(NEXT) | instid1(VALU_DEP_2)
	v_add_co_u32 v1, vcc_lo, s42, v3
	v_add_co_ci_u32_e32 v2, vcc_lo, s43, v4, vcc_lo
	v_add_co_u32 v3, vcc_lo, s61, v3
	v_add_co_ci_u32_e32 v4, vcc_lo, s62, v4, vcc_lo
	global_load_b64 v[7:8], v[1:2], off
	global_load_b32 v2, v11, s[18:19]
	s_and_not1_b32 vcc_lo, exec_lo, s23
	global_load_b64 v[3:4], v[3:4], off
	s_waitcnt vmcnt(2)
	v_add_f32_e32 v1, v7, v8
	s_waitcnt vmcnt(1)
	s_delay_alu instid0(VALU_DEP_1) | instskip(SKIP_1) | instid1(VALU_DEP_2)
	v_fmac_f32_e32 v2, -0.5, v1
	v_mul_f32_e32 v6, 0.5, v1
	v_cmp_ge_f32_e64 s4, s38, v2
	s_delay_alu instid0(VALU_DEP_1)
	v_cndmask_b32_e64 v1, 0, 1, s4
	s_cbranch_vccnz .LBB3_46
; %bb.44:                               ;   in Loop: Header=BB3_42 Depth=3
	v_cmp_gt_f32_e64 s28, v2, -s38
	s_mov_b64 s[30:31], s[26:27]
	s_mov_b32 s67, s22
	s_delay_alu instid0(VALU_DEP_1)
	s_and_b32 s4, s4, s28
	s_mov_b64 s[28:29], s[24:25]
	v_cndmask_b32_e64 v2, v2, -s38, s4
	s_set_inst_prefetch_distance 0x1
	.p2align	6
.LBB3_45:                               ;   Parent Loop BB3_4 Depth=1
                                        ;     Parent Loop BB3_37 Depth=2
                                        ;       Parent Loop BB3_42 Depth=3
                                        ; =>      This Inner Loop Header: Depth=4
	s_clause 0x1
	global_load_b32 v5, v11, s[30:31]
	global_load_b32 v27, v11, s[28:29]
	s_add_i32 s67, s67, -1
	s_waitcnt vmcnt(1)
	v_div_scale_f32 v28, null, v2, v2, v5
	v_div_scale_f32 v31, vcc_lo, v5, v2, v5
	s_waitcnt vmcnt(0)
	v_sub_f32_e32 v27, v27, v6
	s_delay_alu instid0(VALU_DEP_3) | instskip(SKIP_2) | instid1(VALU_DEP_1)
	v_rcp_f32_e32 v29, v28
	s_waitcnt_depctr 0xfff
	v_fma_f32 v30, -v28, v29, 1.0
	v_fmac_f32_e32 v29, v30, v29
	s_delay_alu instid0(VALU_DEP_1) | instskip(NEXT) | instid1(VALU_DEP_1)
	v_mul_f32_e32 v30, v31, v29
	v_fma_f32 v32, -v28, v30, v31
	s_delay_alu instid0(VALU_DEP_1) | instskip(NEXT) | instid1(VALU_DEP_1)
	v_fmac_f32_e32 v30, v32, v29
	v_fma_f32 v28, -v28, v30, v31
	s_delay_alu instid0(VALU_DEP_1) | instskip(NEXT) | instid1(VALU_DEP_1)
	v_div_fmas_f32 v28, v28, v29, v30
	v_div_fixup_f32 v2, v28, v2, v5
	s_delay_alu instid0(VALU_DEP_1) | instskip(NEXT) | instid1(VALU_DEP_1)
	v_sub_f32_e32 v2, v27, v2
	v_cmp_ge_f32_e32 vcc_lo, s38, v2
	v_cmp_gt_f32_e64 s68, v2, -s38
	v_add_co_ci_u32_e64 v1, s4, 0, v1, vcc_lo
	s_delay_alu instid0(VALU_DEP_2)
	s_and_b32 s4, vcc_lo, s68
	s_add_u32 s30, s30, 4
	v_cndmask_b32_e64 v2, v2, -s38, s4
	s_addc_u32 s31, s31, 0
	s_add_u32 s28, s28, 4
	s_addc_u32 s29, s29, 0
	s_cmp_lg_u32 s67, 0
	s_cbranch_scc1 .LBB3_45
.LBB3_46:                               ;   in Loop: Header=BB3_42 Depth=3
	s_set_inst_prefetch_distance 0x2
	s_waitcnt vmcnt(0)
	s_delay_alu instid0(VALU_DEP_1) | instskip(SKIP_1) | instid1(VALU_DEP_1)
	v_max_i32_e32 v1, v1, v3
	s_mov_b32 s4, exec_lo
	v_min_i32_e32 v2, v1, v4
	s_delay_alu instid0(VALU_DEP_1)
	v_cmpx_ne_u32_e64 v2, v3
	s_xor_b32 s4, exec_lo, s4
	s_cbranch_execz .LBB3_52
; %bb.47:                               ;   in Loop: Header=BB3_42 Depth=3
	s_mov_b32 s28, exec_lo
	v_cmpx_le_i32_e64 v4, v1
	s_xor_b32 s28, exec_lo, s28
	s_cbranch_execz .LBB3_49
; %bb.48:                               ;   in Loop: Header=BB3_42 Depth=3
	v_dual_mov_b32 v8, v6 :: v_dual_mov_b32 v1, v3
	ds_store_b32 v9, v11
	ds_store_b64 v10, v[7:8]
	ds_store_b64 v12, v[1:2]
                                        ; implicit-def: $vgpr7
.LBB3_49:                               ;   in Loop: Header=BB3_42 Depth=3
	s_and_not1_saveexec_b32 s28, s28
	s_cbranch_execz .LBB3_51
; %bb.50:                               ;   in Loop: Header=BB3_42 Depth=3
	v_mov_b32_e32 v5, v7
	v_mov_b32_e32 v7, v6
	;; [unrolled: 1-line block ×4, first 2 shown]
	ds_store_b32 v9, v15
	ds_store_b128 v10, v[5:8]
	ds_store_b128 v12, v[1:4]
.LBB3_51:                               ;   in Loop: Header=BB3_42 Depth=3
	s_or_b32 exec_lo, exec_lo, s28
                                        ; implicit-def: $vgpr6
.LBB3_52:                               ;   in Loop: Header=BB3_42 Depth=3
	s_and_not1_saveexec_b32 s4, s4
	s_cbranch_execz .LBB3_54
; %bb.53:                               ;   in Loop: Header=BB3_42 Depth=3
	v_mov_b32_e32 v7, v8
	ds_store_b32 v9, v11
	ds_store_b64 v10, v[6:7]
	ds_store_b64 v12, v[3:4]
.LBB3_54:                               ;   in Loop: Header=BB3_42 Depth=3
	s_or_b32 exec_lo, exec_lo, s4
.LBB3_55:                               ;   in Loop: Header=BB3_42 Depth=3
	s_delay_alu instid0(SALU_CYCLE_1)
	s_or_b32 exec_lo, exec_lo, s66
	s_waitcnt lgkmcnt(0)
	s_barrier
	buffer_gl0_inv
	s_and_saveexec_b32 s4, s3
	s_cbranch_execz .LBB3_63
; %bb.56:                               ;   in Loop: Header=BB3_42 Depth=3
	v_mov_b32_e32 v4, 0
	s_and_saveexec_b32 s3, s1
	s_cbranch_execz .LBB3_60
; %bb.57:                               ;   in Loop: Header=BB3_42 Depth=3
	v_dual_mov_b32 v4, 0 :: v_dual_mov_b32 v1, v0
	s_movk_i32 s29, 0x1000
	s_mov_b32 s28, 0
.LBB3_58:                               ;   Parent Loop BB3_4 Depth=1
                                        ;     Parent Loop BB3_37 Depth=2
                                        ;       Parent Loop BB3_42 Depth=3
                                        ; =>      This Inner Loop Header: Depth=4
	s_delay_alu instid0(VALU_DEP_1)
	v_dual_mov_b32 v2, s29 :: v_dual_add_nc_u32 v1, -1, v1
	s_add_i32 s29, s29, 4
	ds_load_b32 v2, v2
	v_cmp_eq_u32_e32 vcc_lo, 0, v1
	s_or_b32 s28, vcc_lo, s28
	s_waitcnt lgkmcnt(0)
	v_add_nc_u32_e32 v4, v2, v4
	s_and_not1_b32 exec_lo, exec_lo, s28
	s_cbranch_execnz .LBB3_58
; %bb.59:                               ;   in Loop: Header=BB3_42 Depth=3
	s_or_b32 exec_lo, exec_lo, s28
.LBB3_60:                               ;   in Loop: Header=BB3_42 Depth=3
	s_delay_alu instid0(SALU_CYCLE_1)
	s_or_b32 exec_lo, exec_lo, s3
	ds_load_b32 v1, v11 offset:4608
	ds_load_b64 v[7:8], v12
	ds_load_b32 v3, v9
	ds_load_b64 v[27:28], v10
	s_mov_b32 s3, exec_lo
	s_waitcnt lgkmcnt(3)
	v_add3_u32 v1, v4, v0, v1
	s_delay_alu instid0(VALU_DEP_1) | instskip(NEXT) | instid1(VALU_DEP_1)
	v_lshl_add_u32 v1, v1, 1, v24
	v_ashrrev_i32_e32 v2, 31, v1
	s_delay_alu instid0(VALU_DEP_1) | instskip(NEXT) | instid1(VALU_DEP_1)
	v_lshlrev_b64 v[5:6], 2, v[1:2]
	v_add_co_u32 v1, vcc_lo, s42, v5
	s_delay_alu instid0(VALU_DEP_2)
	v_add_co_ci_u32_e32 v2, vcc_lo, s43, v6, vcc_lo
	v_add_co_u32 v5, vcc_lo, s61, v5
	v_add_co_ci_u32_e32 v6, vcc_lo, s62, v6, vcc_lo
	s_waitcnt lgkmcnt(0)
	global_store_b64 v[1:2], v[27:28], off
	global_store_b64 v[5:6], v[7:8], off
	v_cmpx_ne_u32_e32 0, v3
	s_cbranch_execz .LBB3_62
; %bb.61:                               ;   in Loop: Header=BB3_42 Depth=3
	ds_load_b64 v[7:8], v10 offset:8
	ds_load_b64 v[27:28], v12 offset:8
	s_waitcnt lgkmcnt(1)
	global_store_b64 v[1:2], v[7:8], off offset:8
	s_waitcnt lgkmcnt(0)
	global_store_b64 v[5:6], v[27:28], off offset:8
.LBB3_62:                               ;   in Loop: Header=BB3_42 Depth=3
	s_or_b32 exec_lo, exec_lo, s3
.LBB3_63:                               ;   in Loop: Header=BB3_42 Depth=3
	s_delay_alu instid0(SALU_CYCLE_1)
	s_or_b32 exec_lo, exec_lo, s4
	v_subrev_nc_u32_e32 v1, s51, v23
	s_mov_b32 s3, exec_lo
	s_waitcnt_vscnt null, 0x0
	s_barrier
	buffer_gl0_inv
	v_min_i32_e32 v1, 0x80, v1
	s_delay_alu instid0(VALU_DEP_1) | instskip(NEXT) | instid1(VALU_DEP_1)
	v_add_nc_u32_e32 v2, -1, v1
	v_cmpx_eq_u32_e64 v2, v0
	s_cbranch_execz .LBB3_41
; %bb.64:                               ;   in Loop: Header=BB3_42 Depth=3
	ds_load_b32 v2, v9
	ds_load_b32 v3, v11 offset:4608
	v_add_nc_u32_e32 v1, v4, v1
	s_waitcnt lgkmcnt(0)
	s_delay_alu instid0(VALU_DEP_1)
	v_add3_u32 v1, v1, v2, v3
	ds_store_b32 v11, v1 offset:4608
	s_branch .LBB3_41
.LBB3_65:                               ;   in Loop: Header=BB3_37 Depth=2
	s_or_b32 exec_lo, exec_lo, s50
.LBB3_66:                               ;   in Loop: Header=BB3_37 Depth=2
	s_delay_alu instid0(SALU_CYCLE_1)
	s_or_b32 exec_lo, exec_lo, s47
	ds_load_b32 v23, v11 offset:4608
	s_and_saveexec_b32 s3, s0
	s_cbranch_execz .LBB3_69
; %bb.67:                               ;   in Loop: Header=BB3_37 Depth=2
	ds_load_b64 v[1:2], v11
	s_waitcnt lgkmcnt(0)
	v_cmp_lt_f32_e64 vcc_lo, |v1|, |v2|
	v_cndmask_b32_e32 v3, v1, v2, vcc_lo
	s_delay_alu instid0(VALU_DEP_1) | instskip(NEXT) | instid1(VALU_DEP_1)
	v_mul_f32_e64 v3, v13, |v3|
	v_cmp_lt_f32_e32 vcc_lo, v25, v3
	v_dual_sub_f32 v1, v2, v1 :: v_dual_cndmask_b32 v2, v25, v3
	s_delay_alu instid0(VALU_DEP_1)
	v_cmp_nlt_f32_e32 vcc_lo, v1, v2
	s_cbranch_vccnz .LBB3_69
; %bb.68:                               ;   in Loop: Header=BB3_37 Depth=2
	ds_store_b8 v11, v15 offset:4613
.LBB3_69:                               ;   in Loop: Header=BB3_37 Depth=2
	s_or_b32 exec_lo, exec_lo, s3
	s_waitcnt lgkmcnt(0)
	s_barrier
	buffer_gl0_inv
	ds_load_u8 v1, v11 offset:4612
	v_add_nc_u32_e32 v22, 1, v22
	s_waitcnt lgkmcnt(0)
	v_and_b32_e32 v1, 1, v1
	s_delay_alu instid0(VALU_DEP_1)
	v_cmp_eq_u32_e32 vcc_lo, 1, v1
	s_cbranch_vccnz .LBB3_35
; %bb.70:                               ;   in Loop: Header=BB3_37 Depth=2
	s_mov_b32 s4, -1
	s_mov_b32 s3, 0
	s_branch .LBB3_36
.LBB3_71:                               ;   in Loop: Header=BB3_4 Depth=1
	v_mov_b32_e32 v24, v17
	s_and_saveexec_b32 s4, s0
	s_cbranch_execnz .LBB3_74
	s_branch .LBB3_88
.LBB3_72:                               ;   in Loop: Header=BB3_4 Depth=1
	s_or_b32 exec_lo, exec_lo, s45
	s_delay_alu instid0(SALU_CYCLE_1)
	s_or_not1_b32 s3, s46, exec_lo
.LBB3_73:                               ;   in Loop: Header=BB3_4 Depth=1
	s_or_b32 exec_lo, exec_lo, s15
	s_and_saveexec_b32 s4, s0
	s_cbranch_execz .LBB3_88
.LBB3_74:                               ;   in Loop: Header=BB3_4 Depth=1
	s_and_saveexec_b32 s15, s3
	s_cbranch_execz .LBB3_87
; %bb.75:                               ;   in Loop: Header=BB3_4 Depth=1
	ds_load_u8 v1, v11 offset:4613
	s_mov_b32 s18, exec_lo
	s_waitcnt lgkmcnt(0)
	v_readfirstlane_b32 s3, v1
	s_delay_alu instid0(VALU_DEP_1)
	s_bitcmp1_b32 s3, 0
	s_cselect_b32 s17, -1, 0
	v_cmpx_lt_i32_e32 0, v23
	s_cbranch_execz .LBB3_84
; %bb.76:                               ;   in Loop: Header=BB3_4 Depth=1
	v_mov_b32_e32 v7, 0
	s_add_i32 s3, s14, 1
	s_not_b32 s19, s14
	s_and_b32 s22, s17, exec_lo
	s_cselect_b32 s22, s3, s19
	s_mov_b32 s19, 0
	s_mov_b32 s23, 0
.LBB3_77:                               ;   Parent Loop BB3_4 Depth=1
                                        ; =>  This Loop Header: Depth=2
                                        ;       Child Loop BB3_79 Depth 3
	s_delay_alu instid0(SALU_CYCLE_1) | instskip(SKIP_1) | instid1(VALU_DEP_1)
	v_lshl_add_u32 v1, s23, 1, v24
	s_mov_b32 s24, exec_lo
	v_ashrrev_i32_e32 v2, 31, v1
	s_delay_alu instid0(VALU_DEP_1) | instskip(NEXT) | instid1(VALU_DEP_1)
	v_lshlrev_b64 v[1:2], 2, v[1:2]
	v_add_co_u32 v3, vcc_lo, s61, v1
	s_delay_alu instid0(VALU_DEP_2) | instskip(SKIP_3) | instid1(VALU_DEP_1)
	v_add_co_ci_u32_e32 v4, vcc_lo, s62, v2, vcc_lo
	global_load_b64 v[3:4], v[3:4], off
	s_waitcnt vmcnt(0)
	v_sub_nc_u32_e32 v3, v4, v3
	v_cmpx_lt_i32_e32 0, v3
	s_cbranch_execz .LBB3_81
; %bb.78:                               ;   in Loop: Header=BB3_77 Depth=2
	v_add_co_u32 v1, vcc_lo, s42, v1
	v_add_co_ci_u32_e32 v2, vcc_lo, s43, v2, vcc_lo
	s_mov_b32 s25, 0
	s_mov_b32 s26, 0
	global_load_b64 v[1:2], v[1:2], off
	s_waitcnt vmcnt(0)
	v_dual_add_f32 v8, v1, v2 :: v_dual_add_nc_u32 v5, s16, v7
	s_delay_alu instid0(VALU_DEP_1) | instskip(NEXT) | instid1(VALU_DEP_2)
	v_ashrrev_i32_e32 v6, 31, v5
	v_mul_f32_e32 v8, 0.5, v8
	s_delay_alu instid0(VALU_DEP_2) | instskip(NEXT) | instid1(VALU_DEP_1)
	v_lshlrev_b64 v[5:6], 2, v[5:6]
	v_add_co_u32 v1, vcc_lo, s55, v5
	s_delay_alu instid0(VALU_DEP_2)
	v_add_co_ci_u32_e32 v2, vcc_lo, s56, v6, vcc_lo
	v_add_co_u32 v5, vcc_lo, s57, v5
	v_add_co_ci_u32_e32 v6, vcc_lo, s58, v6, vcc_lo
	.p2align	6
.LBB3_79:                               ;   Parent Loop BB3_4 Depth=1
                                        ;     Parent Loop BB3_77 Depth=2
                                        ; =>    This Inner Loop Header: Depth=3
	s_add_i32 s26, s26, 1
	s_delay_alu instid0(SALU_CYCLE_1)
	v_dual_mov_b32 v26, s22 :: v_dual_add_nc_u32 v25, s26, v7
	global_store_b32 v[1:2], v8, off
	v_add_co_u32 v1, vcc_lo, v1, 4
	v_add_co_ci_u32_e32 v2, vcc_lo, 0, v2, vcc_lo
	v_cmp_ge_i32_e32 vcc_lo, s26, v3
	global_store_b32 v[5:6], v26, off
	v_add_co_u32 v5, s3, v5, 4
	s_delay_alu instid0(VALU_DEP_1) | instskip(SKIP_1) | instid1(SALU_CYCLE_1)
	v_add_co_ci_u32_e64 v6, s3, 0, v6, s3
	s_or_b32 s25, vcc_lo, s25
	s_and_not1_b32 exec_lo, exec_lo, s25
	s_cbranch_execnz .LBB3_79
; %bb.80:                               ;   in Loop: Header=BB3_77 Depth=2
	s_or_b32 exec_lo, exec_lo, s25
	v_mov_b32_e32 v7, v25
.LBB3_81:                               ;   in Loop: Header=BB3_77 Depth=2
	s_or_b32 exec_lo, exec_lo, s24
; %bb.82:                               ;   in Loop: Header=BB3_77 Depth=2
	s_add_i32 s23, s23, 1
	s_delay_alu instid0(SALU_CYCLE_1) | instskip(SKIP_1) | instid1(SALU_CYCLE_1)
	v_cmp_eq_u32_e32 vcc_lo, s23, v23
	s_or_b32 s19, vcc_lo, s19
	s_and_not1_b32 exec_lo, exec_lo, s19
	s_cbranch_execnz .LBB3_77
; %bb.83:                               ;   in Loop: Header=BB3_4 Depth=1
	s_or_b32 exec_lo, exec_lo, s19
.LBB3_84:                               ;   in Loop: Header=BB3_4 Depth=1
	s_delay_alu instid0(SALU_CYCLE_1)
	s_or_b32 exec_lo, exec_lo, s18
	s_xor_b32 s3, s17, -1
; %bb.85:                               ;   in Loop: Header=BB3_4 Depth=1
	s_delay_alu instid0(SALU_CYCLE_1)
	s_and_b32 vcc_lo, exec_lo, s3
	s_cbranch_vccz .LBB3_87
; %bb.86:                               ;   in Loop: Header=BB3_4 Depth=1
	global_store_b32 v11, v15, s[12:13]
.LBB3_87:                               ;   in Loop: Header=BB3_4 Depth=1
	s_or_b32 exec_lo, exec_lo, s15
.LBB3_88:                               ;   in Loop: Header=BB3_4 Depth=1
	s_delay_alu instid0(SALU_CYCLE_1)
	s_or_b32 exec_lo, exec_lo, s4
	s_branch .LBB3_3
.LBB3_89:                               ;   in Loop: Header=BB3_4 Depth=1
	s_and_saveexec_b32 s3, s0
	s_cbranch_execz .LBB3_2
; %bb.90:                               ;   in Loop: Header=BB3_4 Depth=1
	s_ashr_i32 s17, s16, 31
	s_delay_alu instid0(SALU_CYCLE_1) | instskip(NEXT) | instid1(SALU_CYCLE_1)
	s_lshl_b64 s[16:17], s[16:17], 2
	s_add_u32 s18, s7, s16
	s_addc_u32 s19, s52, s17
	s_and_not1_b32 vcc_lo, exec_lo, s63
	global_load_b32 v1, v11, s[18:19]
	s_cbranch_vccnz .LBB3_94
; %bb.91:                               ;   in Loop: Header=BB3_4 Depth=1
	global_load_b32 v3, v11, s[10:11]
	s_waitcnt vmcnt(1)
	v_subrev_f32_e32 v2, s38, v1
	s_mov_b32 s4, 0
	s_waitcnt vmcnt(0)
	s_delay_alu instid0(VALU_DEP_1)
	v_cmp_lt_f32_e32 vcc_lo, v3, v2
	v_cmp_nlt_f32_e64 s15, v3, v2
	s_cbranch_vccnz .LBB3_95
; %bb.92:                               ;   in Loop: Header=BB3_4 Depth=1
	s_delay_alu instid0(VALU_DEP_1)
	s_and_not1_b32 vcc_lo, exec_lo, s15
	s_cbranch_vccz .LBB3_96
.LBB3_93:                               ;   in Loop: Header=BB3_4 Depth=1
	s_and_b32 vcc_lo, exec_lo, s4
	s_cbranch_vccz .LBB3_2
	s_branch .LBB3_97
.LBB3_94:                               ;   in Loop: Header=BB3_4 Depth=1
	s_cbranch_execz .LBB3_2
	s_branch .LBB3_97
.LBB3_95:                               ;   in Loop: Header=BB3_4 Depth=1
	global_load_b32 v3, v11, s[10:11] offset:4
	s_mov_b32 s4, -1
	s_waitcnt vmcnt(0)
	v_cmp_nge_f32_e64 s15, v3, v2
	s_delay_alu instid0(VALU_DEP_1)
	s_and_not1_b32 vcc_lo, exec_lo, s15
	s_cbranch_vccnz .LBB3_93
.LBB3_96:                               ;   in Loop: Header=BB3_4 Depth=1
	s_add_u32 s18, s36, s8
	s_addc_u32 s19, s37, s9
	global_store_b32 v11, v11, s[18:19]
	s_branch .LBB3_2
.LBB3_97:                               ;   in Loop: Header=BB3_4 Depth=1
	s_add_u32 s18, s55, s16
	s_addc_u32 s19, s56, s17
	s_add_u32 s8, s36, s8
	s_addc_u32 s9, s37, s9
	s_add_i32 s4, s14, 1
	s_add_u32 s16, s57, s16
	v_mov_b32_e32 v2, s4
	s_addc_u32 s17, s58, s17
	s_waitcnt vmcnt(0)
	s_clause 0x2
	global_store_b32 v11, v1, s[18:19]
	global_store_b32 v11, v15, s[8:9]
	;; [unrolled: 1-line block ×3, first 2 shown]
	s_branch .LBB3_2
.LBB3_98:
	s_endpgm
	.section	.rodata,"a",@progbits
	.p2align	6, 0x0
	.amdhsa_kernel _ZN9rocsolver6v33100L22stebz_bisection_kernelIfPfEEv15rocblas_erange_iT_T0_iiS5_iiPiPS4_lS6_lS6_lS6_S6_S7_S7_S7_S7_S6_S4_S4_
		.amdhsa_group_segment_fixed_size 4616
		.amdhsa_private_segment_fixed_size 0
		.amdhsa_kernarg_size 168
		.amdhsa_user_sgpr_count 14
		.amdhsa_user_sgpr_dispatch_ptr 0
		.amdhsa_user_sgpr_queue_ptr 0
		.amdhsa_user_sgpr_kernarg_segment_ptr 1
		.amdhsa_user_sgpr_dispatch_id 0
		.amdhsa_user_sgpr_private_segment_size 0
		.amdhsa_wavefront_size32 1
		.amdhsa_uses_dynamic_stack 0
		.amdhsa_enable_private_segment 0
		.amdhsa_system_sgpr_workgroup_id_x 1
		.amdhsa_system_sgpr_workgroup_id_y 1
		.amdhsa_system_sgpr_workgroup_id_z 0
		.amdhsa_system_sgpr_workgroup_info 0
		.amdhsa_system_vgpr_workitem_id 0
		.amdhsa_next_free_vgpr 33
		.amdhsa_next_free_sgpr 69
		.amdhsa_reserve_vcc 1
		.amdhsa_float_round_mode_32 0
		.amdhsa_float_round_mode_16_64 0
		.amdhsa_float_denorm_mode_32 3
		.amdhsa_float_denorm_mode_16_64 3
		.amdhsa_dx10_clamp 1
		.amdhsa_ieee_mode 1
		.amdhsa_fp16_overflow 0
		.amdhsa_workgroup_processor_mode 1
		.amdhsa_memory_ordered 1
		.amdhsa_forward_progress 0
		.amdhsa_shared_vgpr_count 0
		.amdhsa_exception_fp_ieee_invalid_op 0
		.amdhsa_exception_fp_denorm_src 0
		.amdhsa_exception_fp_ieee_div_zero 0
		.amdhsa_exception_fp_ieee_overflow 0
		.amdhsa_exception_fp_ieee_underflow 0
		.amdhsa_exception_fp_ieee_inexact 0
		.amdhsa_exception_int_div_zero 0
	.end_amdhsa_kernel
	.section	.text._ZN9rocsolver6v33100L22stebz_bisection_kernelIfPfEEv15rocblas_erange_iT_T0_iiS5_iiPiPS4_lS6_lS6_lS6_S6_S7_S7_S7_S7_S6_S4_S4_,"axG",@progbits,_ZN9rocsolver6v33100L22stebz_bisection_kernelIfPfEEv15rocblas_erange_iT_T0_iiS5_iiPiPS4_lS6_lS6_lS6_S6_S7_S7_S7_S7_S6_S4_S4_,comdat
.Lfunc_end3:
	.size	_ZN9rocsolver6v33100L22stebz_bisection_kernelIfPfEEv15rocblas_erange_iT_T0_iiS5_iiPiPS4_lS6_lS6_lS6_S6_S7_S7_S7_S7_S6_S4_S4_, .Lfunc_end3-_ZN9rocsolver6v33100L22stebz_bisection_kernelIfPfEEv15rocblas_erange_iT_T0_iiS5_iiPiPS4_lS6_lS6_lS6_S6_S7_S7_S7_S7_S6_S4_S4_
                                        ; -- End function
	.section	.AMDGPU.csdata,"",@progbits
; Kernel info:
; codeLenInByte = 4540
; NumSgprs: 71
; NumVgprs: 33
; ScratchSize: 0
; MemoryBound: 0
; FloatMode: 240
; IeeeMode: 1
; LDSByteSize: 4616 bytes/workgroup (compile time only)
; SGPRBlocks: 8
; VGPRBlocks: 4
; NumSGPRsForWavesPerEU: 71
; NumVGPRsForWavesPerEU: 33
; Occupancy: 16
; WaveLimiterHint : 1
; COMPUTE_PGM_RSRC2:SCRATCH_EN: 0
; COMPUTE_PGM_RSRC2:USER_SGPR: 14
; COMPUTE_PGM_RSRC2:TRAP_HANDLER: 0
; COMPUTE_PGM_RSRC2:TGID_X_EN: 1
; COMPUTE_PGM_RSRC2:TGID_Y_EN: 1
; COMPUTE_PGM_RSRC2:TGID_Z_EN: 0
; COMPUTE_PGM_RSRC2:TIDIG_COMP_CNT: 0
	.section	.text._ZN9rocsolver6v33100L22stebz_synthesis_kernelIfPfEEv15rocblas_erange_15rocblas_eorder_iiiT0_iiPiS6_PT_lS6_lS6_liS6_S8_S8_S8_S8_S6_S7_,"axG",@progbits,_ZN9rocsolver6v33100L22stebz_synthesis_kernelIfPfEEv15rocblas_erange_15rocblas_eorder_iiiT0_iiPiS6_PT_lS6_lS6_liS6_S8_S8_S8_S8_S6_S7_,comdat
	.globl	_ZN9rocsolver6v33100L22stebz_synthesis_kernelIfPfEEv15rocblas_erange_15rocblas_eorder_iiiT0_iiPiS6_PT_lS6_lS6_liS6_S8_S8_S8_S8_S6_S7_ ; -- Begin function _ZN9rocsolver6v33100L22stebz_synthesis_kernelIfPfEEv15rocblas_erange_15rocblas_eorder_iiiT0_iiPiS6_PT_lS6_lS6_liS6_S8_S8_S8_S8_S6_S7_
	.p2align	8
	.type	_ZN9rocsolver6v33100L22stebz_synthesis_kernelIfPfEEv15rocblas_erange_15rocblas_eorder_iiiT0_iiPiS6_PT_lS6_lS6_liS6_S8_S8_S8_S8_S6_S7_,@function
_ZN9rocsolver6v33100L22stebz_synthesis_kernelIfPfEEv15rocblas_erange_15rocblas_eorder_iiiT0_iiPiS6_PT_lS6_lS6_liS6_S8_S8_S8_S8_S6_S7_: ; @_ZN9rocsolver6v33100L22stebz_synthesis_kernelIfPfEEv15rocblas_erange_15rocblas_eorder_iiiT0_iiPiS6_PT_lS6_lS6_liS6_S8_S8_S8_S8_S6_S7_
; %bb.0:
	s_clause 0x1
	s_load_b32 s2, s[0:1], 0xb4
	s_load_b32 s3, s[0:1], 0x68
	s_waitcnt lgkmcnt(0)
	s_and_b32 s2, s2, 0xffff
	s_delay_alu instid0(SALU_CYCLE_1) | instskip(SKIP_1) | instid1(VALU_DEP_1)
	v_mad_u64_u32 v[8:9], null, s15, s2, v[0:1]
	s_mov_b32 s2, exec_lo
	v_cmpx_gt_i32_e64 s3, v8
	s_cbranch_execz .LBB4_61
; %bb.1:
	s_load_b512 s[4:19], s[0:1], 0x28
	v_ashrrev_i32_e32 v9, 31, v8
	s_load_b256 s[20:27], s[0:1], 0x70
	s_delay_alu instid0(VALU_DEP_1) | instskip(SKIP_1) | instid1(VALU_DEP_1)
	v_lshlrev_b64 v[6:7], 2, v[8:9]
	s_waitcnt lgkmcnt(0)
	v_add_co_u32 v0, vcc_lo, s6, v6
	s_delay_alu instid0(VALU_DEP_2)
	v_add_co_ci_u32_e32 v1, vcc_lo, s7, v7, vcc_lo
	v_mul_lo_u32 v4, v8, s11
	v_mul_lo_u32 v5, v9, s10
	;; [unrolled: 1-line block ×3, first 2 shown]
	global_load_b32 v26, v[0:1], off
	s_clause 0x1
	s_load_b128 s[28:31], s[0:1], 0x0
	s_load_b32 s33, s[0:1], 0x10
	v_mad_u64_u32 v[0:1], null, v8, s10, 0
	v_mul_lo_u32 v12, v9, s14
	v_mad_u64_u32 v[2:3], null, v8, s14, 0
	v_mul_lo_u32 v13, v8, s19
	v_mul_lo_u32 v15, v9, s18
	v_mad_u64_u32 v[9:10], null, v8, s18, 0
	v_add3_u32 v1, v1, v4, v5
	v_add3_u32 v3, v3, v11, v12
	s_delay_alu instid0(VALU_DEP_2) | instskip(NEXT) | instid1(VALU_DEP_4)
	v_lshlrev_b64 v[4:5], 2, v[0:1]
	v_add3_u32 v10, v10, v13, v15
	s_delay_alu instid0(VALU_DEP_3)
	v_lshlrev_b64 v[12:13], 2, v[2:3]
	s_waitcnt lgkmcnt(0)
	v_mul_lo_u32 v14, v8, s30
	s_cmpk_eq_i32 s28, 0xe9
	v_lshlrev_b64 v[9:10], 2, v[9:10]
	v_add_co_u32 v0, vcc_lo, s8, v4
	v_add_co_ci_u32_e32 v1, vcc_lo, s9, v5, vcc_lo
	v_add_co_u32 v2, vcc_lo, s12, v12
	v_ashrrev_i32_e32 v15, 31, v14
	v_add_co_ci_u32_e32 v3, vcc_lo, s13, v13, vcc_lo
	v_add_co_u32 v24, vcc_lo, s16, v9
	s_delay_alu instid0(VALU_DEP_3) | instskip(SKIP_1) | instid1(VALU_DEP_2)
	v_lshlrev_b64 v[14:15], 2, v[14:15]
	v_add_co_ci_u32_e32 v29, vcc_lo, s17, v10, vcc_lo
	v_add_co_u32 v27, vcc_lo, s20, v14
	s_delay_alu instid0(VALU_DEP_3)
	v_add_co_ci_u32_e32 v28, vcc_lo, s21, v15, vcc_lo
	s_waitcnt vmcnt(0)
	v_cmp_lt_i32_e32 vcc_lo, 0, v26
	v_cmp_gt_i32_e64 s2, 1, v26
	s_cbranch_scc1 .LBB4_12
; %bb.2:
	v_mov_b32_e32 v10, 0
	s_and_saveexec_b32 s14, vcc_lo
	s_cbranch_execz .LBB4_14
; %bb.3:
	v_add_co_u32 v9, vcc_lo, v24, -4
	v_add_co_ci_u32_e32 v25, vcc_lo, -1, v29, vcc_lo
	v_mov_b32_e32 v10, 0
	s_mov_b32 s7, 0
	s_mov_b32 s15, 0
	;; [unrolled: 1-line block ×3, first 2 shown]
	s_branch .LBB4_5
.LBB4_4:                                ;   in Loop: Header=BB4_5 Depth=1
	s_or_b32 exec_lo, exec_lo, s10
	s_add_i32 s6, s6, 1
	s_delay_alu instid0(SALU_CYCLE_1) | instskip(SKIP_1) | instid1(SALU_CYCLE_1)
	v_cmp_eq_u32_e32 vcc_lo, s6, v26
	s_or_b32 s15, vcc_lo, s15
	s_and_not1_b32 exec_lo, exec_lo, s15
	s_cbranch_execz .LBB4_13
.LBB4_5:                                ; =>This Loop Header: Depth=1
                                        ;     Child Loop BB4_10 Depth 2
	s_cmp_eq_u32 s6, 0
	s_cbranch_scc1 .LBB4_7
; %bb.6:                                ;   in Loop: Header=BB4_5 Depth=1
	s_lshl_b64 s[10:11], s[6:7], 2
	s_delay_alu instid0(SALU_CYCLE_1)
	v_add_co_u32 v14, vcc_lo, v9, s10
	v_add_co_ci_u32_e32 v15, vcc_lo, s11, v25, vcc_lo
	s_mov_b64 s[10:11], s[6:7]
	global_load_b32 v16, v[14:15], off
	s_branch .LBB4_8
.LBB4_7:                                ;   in Loop: Header=BB4_5 Depth=1
	v_mov_b32_e32 v16, 0
	s_mov_b64 s[10:11], 0
.LBB4_8:                                ;   in Loop: Header=BB4_5 Depth=1
	s_delay_alu instid0(SALU_CYCLE_1) | instskip(NEXT) | instid1(SALU_CYCLE_1)
	s_lshl_b64 s[10:11], s[10:11], 2
	v_add_co_u32 v14, vcc_lo, v27, s10
	v_add_co_ci_u32_e32 v15, vcc_lo, s11, v28, vcc_lo
	s_mov_b32 s10, exec_lo
	global_load_b32 v11, v[14:15], off
	s_waitcnt vmcnt(0)
	v_cmpx_lt_i32_e32 0, v11
	s_cbranch_execz .LBB4_4
; %bb.9:                                ;   in Loop: Header=BB4_5 Depth=1
	v_ashrrev_i32_e32 v17, 31, v16
	v_ashrrev_i32_e32 v11, 31, v10
	v_dual_mov_b32 v21, v3 :: v_dual_mov_b32 v20, v2
	v_dual_mov_b32 v23, v1 :: v_dual_mov_b32 v22, v0
	s_delay_alu instid0(VALU_DEP_4) | instskip(NEXT) | instid1(VALU_DEP_4)
	v_lshlrev_b64 v[16:17], 2, v[16:17]
	v_lshlrev_b64 v[18:19], 2, v[10:11]
	s_mov_b32 s11, 0
	s_mov_b32 s16, 0
	s_set_inst_prefetch_distance 0x1
	.p2align	6
.LBB4_10:                               ;   Parent Loop BB4_5 Depth=1
                                        ; =>  This Inner Loop Header: Depth=2
	s_delay_alu instid0(VALU_DEP_2)
	v_add_co_u32 v30, vcc_lo, v20, v16
	v_add_co_ci_u32_e32 v31, vcc_lo, v21, v17, vcc_lo
	s_add_i32 s16, s16, 1
	global_load_b32 v11, v[30:31], off
	v_add_co_u32 v30, vcc_lo, v20, v18
	v_add_co_ci_u32_e32 v31, vcc_lo, v21, v19, vcc_lo
	v_add_co_u32 v32, vcc_lo, v22, v16
	v_add_co_ci_u32_e32 v33, vcc_lo, v23, v17, vcc_lo
	global_load_b32 v32, v[32:33], off
	s_waitcnt vmcnt(1)
	global_store_b32 v[30:31], v11, off
	global_load_b32 v11, v[14:15], off
	v_add_co_u32 v30, vcc_lo, v22, v18
	v_add_co_ci_u32_e32 v31, vcc_lo, v23, v19, vcc_lo
	v_add_co_u32 v22, vcc_lo, v22, 4
	v_add_co_ci_u32_e32 v23, vcc_lo, 0, v23, vcc_lo
	;; [unrolled: 2-line block ×3, first 2 shown]
	s_waitcnt vmcnt(1)
	global_store_b32 v[30:31], v32, off
	s_waitcnt vmcnt(0)
	v_cmp_ge_i32_e64 s3, s16, v11
	v_add_nc_u32_e32 v11, s16, v10
	s_delay_alu instid0(VALU_DEP_2) | instskip(NEXT) | instid1(SALU_CYCLE_1)
	s_or_b32 s11, s3, s11
	s_and_not1_b32 exec_lo, exec_lo, s11
	s_cbranch_execnz .LBB4_10
; %bb.11:                               ;   in Loop: Header=BB4_5 Depth=1
	s_set_inst_prefetch_distance 0x2
	s_or_b32 exec_lo, exec_lo, s11
	v_mov_b32_e32 v10, v11
	s_branch .LBB4_4
.LBB4_12:
                                        ; implicit-def: $vgpr10
	s_branch .LBB4_15
.LBB4_13:
	s_or_b32 exec_lo, exec_lo, s15
.LBB4_14:
	s_delay_alu instid0(SALU_CYCLE_1)
	s_or_b32 exec_lo, exec_lo, s14
	s_cbranch_execnz .LBB4_53
.LBB4_15:
	v_add_co_u32 v9, vcc_lo, s22, v6
	v_add_co_ci_u32_e32 v10, vcc_lo, s23, v7, vcc_lo
	s_load_b128 s[16:19], s[0:1], 0x90
	v_lshlrev_b32_e32 v14, 1, v8
                                        ; implicit-def: $sgpr3
                                        ; implicit-def: $sgpr6_sgpr7
	global_load_b32 v25, v[9:10], off
	v_mul_lo_u32 v10, v14, s30
	s_delay_alu instid0(VALU_DEP_1) | instskip(SKIP_1) | instid1(SALU_CYCLE_1)
	v_ashrrev_i32_e32 v11, 31, v10
	s_and_saveexec_b32 s10, s2
	s_xor_b32 s2, exec_lo, s10
; %bb.16:
	s_ashr_i32 s7, s30, 31
	s_mov_b32 s6, s30
	s_mov_b32 s3, 0
                                        ; implicit-def: $vgpr26
                                        ; implicit-def: $vgpr27
                                        ; implicit-def: $vgpr28
                                        ; implicit-def: $vgpr24
                                        ; implicit-def: $vgpr29
                                        ; implicit-def: $vgpr12_vgpr13
; %bb.17:
	s_or_saveexec_b32 s20, s2
	v_lshlrev_b64 v[15:16], 2, v[10:11]
	v_mov_b32_e32 v11, s7
	v_dual_mov_b32 v9, s3 :: v_dual_mov_b32 v10, s6
	s_xor_b32 exec_lo, exec_lo, s20
	s_cbranch_execz .LBB4_28
; %bb.18:
	v_add_co_u32 v30, vcc_lo, v24, -4
	v_add_co_ci_u32_e32 v29, vcc_lo, -1, v29, vcc_lo
	v_add_co_u32 v31, vcc_lo, s8, v4
	v_add_co_ci_u32_e32 v32, vcc_lo, s9, v5, vcc_lo
	v_add_co_u32 v33, vcc_lo, s12, v12
	v_add_co_ci_u32_e32 v13, vcc_lo, s13, v13, vcc_lo
	s_waitcnt lgkmcnt(0)
	v_add_co_u32 v34, vcc_lo, s16, v15
	v_add_co_ci_u32_e32 v35, vcc_lo, s17, v16, vcc_lo
	v_add_co_u32 v36, vcc_lo, s18, v15
	v_add_co_ci_u32_e32 v37, vcc_lo, s19, v16, vcc_lo
	v_mov_b32_e32 v9, 0
	s_ashr_i32 s7, s30, 31
	s_mov_b32 s6, s30
	s_mov_b32 s15, 0
	s_lshl_b64 s[10:11], s[6:7], 2
	s_mov_b32 s21, 0
	s_mov_b32 s14, s15
	s_branch .LBB4_20
.LBB4_19:                               ;   in Loop: Header=BB4_20 Depth=1
	s_or_b32 exec_lo, exec_lo, s3
	s_add_i32 s14, s14, 1
	s_delay_alu instid0(SALU_CYCLE_1) | instskip(SKIP_1) | instid1(SALU_CYCLE_1)
	v_cmp_eq_u32_e32 vcc_lo, s14, v26
	s_or_b32 s21, vcc_lo, s21
	s_and_not1_b32 exec_lo, exec_lo, s21
	s_cbranch_execz .LBB4_27
.LBB4_20:                               ; =>This Loop Header: Depth=1
                                        ;     Child Loop BB4_25 Depth 2
	s_cmp_eq_u32 s14, 0
	s_cbranch_scc1 .LBB4_22
; %bb.21:                               ;   in Loop: Header=BB4_20 Depth=1
	s_lshl_b64 s[2:3], s[14:15], 2
	s_delay_alu instid0(SALU_CYCLE_1)
	v_add_co_u32 v10, vcc_lo, v30, s2
	v_add_co_ci_u32_e32 v11, vcc_lo, s3, v29, vcc_lo
	s_mov_b64 s[2:3], s[14:15]
	global_load_b32 v17, v[10:11], off
	s_branch .LBB4_23
.LBB4_22:                               ;   in Loop: Header=BB4_20 Depth=1
	v_mov_b32_e32 v17, 0
	s_mov_b64 s[2:3], 0
.LBB4_23:                               ;   in Loop: Header=BB4_20 Depth=1
	s_delay_alu instid0(SALU_CYCLE_1) | instskip(NEXT) | instid1(SALU_CYCLE_1)
	s_lshl_b64 s[2:3], s[2:3], 2
	v_add_co_u32 v11, vcc_lo, v27, s2
	v_add_co_ci_u32_e32 v12, vcc_lo, s3, v28, vcc_lo
	s_mov_b32 s3, exec_lo
	global_load_b32 v10, v[11:12], off
	s_waitcnt vmcnt(0)
	v_cmpx_lt_i32_e32 0, v10
	s_cbranch_execz .LBB4_19
; %bb.24:                               ;   in Loop: Header=BB4_20 Depth=1
	v_ashrrev_i32_e32 v18, 31, v17
	v_ashrrev_i32_e32 v10, 31, v9
	s_mov_b32 s22, 0
	s_mov_b32 s23, 0
	s_delay_alu instid0(VALU_DEP_2) | instskip(NEXT) | instid1(VALU_DEP_2)
	v_lshlrev_b64 v[19:20], 2, v[17:18]
	v_lshlrev_b64 v[23:24], 2, v[9:10]
	s_delay_alu instid0(VALU_DEP_2) | instskip(NEXT) | instid1(VALU_DEP_3)
	v_add_co_u32 v17, vcc_lo, v31, v19
	v_add_co_ci_u32_e32 v18, vcc_lo, v32, v20, vcc_lo
	v_add_co_u32 v19, vcc_lo, v33, v19
	v_add_co_ci_u32_e32 v20, vcc_lo, v13, v20, vcc_lo
	;; [unrolled: 2-line block ×4, first 2 shown]
	s_set_inst_prefetch_distance 0x1
	.p2align	6
.LBB4_25:                               ;   Parent Loop BB4_20 Depth=1
                                        ; =>  This Inner Loop Header: Depth=2
	global_load_b32 v10, v[19:20], off
	v_add_co_u32 v38, vcc_lo, v21, s10
	v_add_co_ci_u32_e32 v39, vcc_lo, s11, v22, vcc_lo
	s_add_i32 s23, s23, 1
	s_waitcnt vmcnt(0)
	global_store_b32 v[23:24], v10, off
	global_load_b32 v40, v[11:12], off
	global_load_b32 v41, v[17:18], off
	v_add_co_u32 v17, vcc_lo, v17, 4
	v_add_co_ci_u32_e32 v18, vcc_lo, 0, v18, vcc_lo
	v_add_co_u32 v19, vcc_lo, v19, 4
	v_add_co_ci_u32_e32 v20, vcc_lo, 0, v20, vcc_lo
	v_add_co_u32 v23, s2, v23, 4
	v_add_nc_u32_e32 v10, s23, v9
	v_add_co_ci_u32_e64 v24, s2, 0, v24, s2
	s_waitcnt vmcnt(0)
	global_store_b32 v[21:22], v41, off
	v_add_co_u32 v21, vcc_lo, v21, 4
	v_add_co_ci_u32_e32 v22, vcc_lo, 0, v22, vcc_lo
	v_cmp_ge_i32_e32 vcc_lo, s23, v40
	global_store_b32 v[38:39], v41, off
	s_or_b32 s22, vcc_lo, s22
	s_delay_alu instid0(SALU_CYCLE_1)
	s_and_not1_b32 exec_lo, exec_lo, s22
	s_cbranch_execnz .LBB4_25
; %bb.26:                               ;   in Loop: Header=BB4_20 Depth=1
	s_set_inst_prefetch_distance 0x2
	s_or_b32 exec_lo, exec_lo, s22
	v_mov_b32_e32 v9, v10
	s_branch .LBB4_19
.LBB4_27:
	s_or_b32 exec_lo, exec_lo, s21
	v_dual_mov_b32 v11, s7 :: v_dual_mov_b32 v10, s6
.LBB4_28:
	s_or_b32 exec_lo, exec_lo, s20
; %bb.29:
	s_waitcnt lgkmcnt(0)
	v_add_co_u32 v24, vcc_lo, s16, v15
	s_delay_alu instid0(VALU_DEP_2) | instskip(SKIP_3) | instid1(VALU_DEP_4)
	v_lshlrev_b64 v[10:11], 2, v[10:11]
	v_add_co_ci_u32_e32 v26, vcc_lo, s17, v16, vcc_lo
	v_add_co_u32 v27, vcc_lo, s18, v15
	v_add_co_ci_u32_e32 v28, vcc_lo, s19, v16, vcc_lo
	v_add_co_u32 v12, vcc_lo, v24, v10
	s_delay_alu instid0(VALU_DEP_4)
	v_add_co_ci_u32_e32 v13, vcc_lo, v26, v11, vcc_lo
	s_mov_b32 s6, 1
	s_mov_b32 s3, exec_lo
	v_cmpx_lt_i32_e32 1, v9
	s_cbranch_execz .LBB4_37
; %bb.30:
	v_add_co_u32 v20, vcc_lo, v27, v10
	v_add_co_ci_u32_e32 v21, vcc_lo, v28, v11, vcc_lo
	v_add_co_u32 v10, vcc_lo, v10, v15
	v_add_co_ci_u32_e32 v11, vcc_lo, v11, v16, vcc_lo
	v_add_co_u32 v22, vcc_lo, v12, -4
	v_add_co_ci_u32_e32 v23, vcc_lo, -1, v13, vcc_lo
	s_delay_alu instid0(VALU_DEP_4) | instskip(NEXT) | instid1(VALU_DEP_4)
	v_add_co_u32 v10, vcc_lo, v10, s16
	v_add_co_ci_u32_e32 v11, vcc_lo, s17, v11, vcc_lo
	v_add_co_u32 v29, vcc_lo, v20, -4
	v_add_co_ci_u32_e32 v30, vcc_lo, -1, v21, vcc_lo
	s_delay_alu instid0(VALU_DEP_4) | instskip(NEXT) | instid1(VALU_DEP_4)
	v_add_co_u32 v10, vcc_lo, v10, 4
	v_add_co_ci_u32_e32 v11, vcc_lo, 0, v11, vcc_lo
	s_cmp_lg_u64 s[18:19], 0
	s_mov_b32 s15, 0
	s_cselect_b32 s14, -1, 0
	s_branch .LBB4_32
.LBB4_31:                               ;   in Loop: Header=BB4_32 Depth=1
	s_or_b32 exec_lo, exec_lo, s2
	s_add_i32 s6, s6, 1
	v_add_co_u32 v10, s2, v10, 4
	v_cmp_eq_u32_e32 vcc_lo, s6, v9
	v_add_co_ci_u32_e64 v11, s2, 0, v11, s2
	s_or_b32 s15, vcc_lo, s15
	s_delay_alu instid0(SALU_CYCLE_1)
	s_and_not1_b32 exec_lo, exec_lo, s15
	s_cbranch_execz .LBB4_37
.LBB4_32:                               ; =>This Loop Header: Depth=1
                                        ;     Child Loop BB4_33 Depth 2
	s_ashr_i32 s7, s6, 31
	v_mov_b32_e32 v19, v11
	s_lshl_b64 s[10:11], s[6:7], 2
	s_add_i32 s7, s6, -1
	v_add_co_u32 v15, vcc_lo, v22, s10
	v_add_co_ci_u32_e32 v16, vcc_lo, s11, v23, vcc_lo
	v_dual_mov_b32 v17, s7 :: v_dual_mov_b32 v18, v10
	s_mov_b32 s16, 0
	global_load_b32 v31, v[15:16], off
	s_mov_b32 s17, s6
	s_waitcnt vmcnt(0)
	v_mov_b32_e32 v32, v31
.LBB4_33:                               ;   Parent Loop BB4_32 Depth=1
                                        ; =>  This Inner Loop Header: Depth=2
	global_load_b32 v33, v[18:19], off
	v_add_co_u32 v18, s2, v18, 4
	s_delay_alu instid0(VALU_DEP_1)
	v_add_co_ci_u32_e64 v19, s2, 0, v19, s2
	s_waitcnt vmcnt(0)
	v_cmp_lt_f32_e32 vcc_lo, v33, v32
	v_cndmask_b32_e64 v17, v17, s17, vcc_lo
	s_add_i32 s17, s17, 1
	v_cndmask_b32_e32 v32, v32, v33, vcc_lo
	v_cmp_ge_i32_e32 vcc_lo, s17, v9
	s_or_b32 s16, vcc_lo, s16
	s_delay_alu instid0(SALU_CYCLE_1)
	s_and_not1_b32 exec_lo, exec_lo, s16
	s_cbranch_execnz .LBB4_33
; %bb.34:                               ;   in Loop: Header=BB4_32 Depth=1
	s_or_b32 exec_lo, exec_lo, s16
	s_delay_alu instid0(SALU_CYCLE_1)
	s_mov_b32 s2, exec_lo
	v_cmpx_ne_u32_e64 s7, v17
	s_cbranch_execz .LBB4_31
; %bb.35:                               ;   in Loop: Header=BB4_32 Depth=1
	v_ashrrev_i32_e32 v18, 31, v17
	s_delay_alu instid0(VALU_DEP_1) | instskip(NEXT) | instid1(VALU_DEP_1)
	v_lshlrev_b64 v[17:18], 2, v[17:18]
	v_add_co_u32 v33, vcc_lo, v12, v17
	s_delay_alu instid0(VALU_DEP_2)
	v_add_co_ci_u32_e32 v34, vcc_lo, v13, v18, vcc_lo
	s_and_not1_b32 vcc_lo, exec_lo, s14
	s_clause 0x1
	global_store_b32 v[33:34], v31, off
	global_store_b32 v[15:16], v32, off
	s_cbranch_vccnz .LBB4_31
; %bb.36:                               ;   in Loop: Header=BB4_32 Depth=1
	v_add_co_u32 v15, vcc_lo, v29, s10
	v_add_co_ci_u32_e32 v16, vcc_lo, s11, v30, vcc_lo
	v_add_co_u32 v17, vcc_lo, v20, v17
	v_add_co_ci_u32_e32 v18, vcc_lo, v21, v18, vcc_lo
	s_clause 0x1
	global_load_b32 v19, v[15:16], off
	global_load_b32 v31, v[17:18], off
	s_waitcnt vmcnt(1)
	global_store_b32 v[17:18], v19, off
	s_waitcnt vmcnt(0)
	global_store_b32 v[15:16], v31, off
	s_branch .LBB4_31
.LBB4_37:
	s_or_b32 exec_lo, exec_lo, s3
	v_mov_b32_e32 v10, 0
	s_mov_b32 s3, 0
	s_mov_b32 s10, exec_lo
	v_cmpx_lt_i32_e32 0, v9
	s_cbranch_execz .LBB4_52
; %bb.38:
	s_load_b128 s[16:19], s[0:1], 0x18
	v_ashrrev_i32_e32 v15, 31, v14
	v_dual_mov_b32 v10, 0 :: v_dual_add_nc_u32 v29, -1, v9
	s_mov_b32 s14, 0
	s_delay_alu instid0(VALU_DEP_2)
	v_lshlrev_b64 v[14:15], 2, v[14:15]
	s_waitcnt lgkmcnt(0)
	s_ashr_i32 s1, s18, 31
	s_mov_b32 s0, s18
	v_mad_i64_i32 v[16:17], null, v8, s19, 0
	s_lshl_b64 s[0:1], s[0:1], 2
	s_delay_alu instid0(SALU_CYCLE_1) | instskip(SKIP_4) | instid1(VALU_DEP_2)
	s_add_u32 s0, s16, s0
	s_addc_u32 s2, s17, s1
	s_add_i32 s1, s30, -1
	s_cmp_gt_i32 s30, 1
	v_mul_lo_u32 v18, v8, s1
	v_lshlrev_b64 v[16:17], 2, v[16:17]
	v_add_co_u32 v8, vcc_lo, s26, v14
	v_add_co_ci_u32_e32 v30, vcc_lo, s27, v15, vcc_lo
	s_cselect_b32 s11, -1, 0
	s_delay_alu instid0(VALU_DEP_3) | instskip(SKIP_2) | instid1(VALU_DEP_3)
	v_add_co_u32 v14, vcc_lo, s0, v16
	v_ashrrev_i32_e32 v19, 31, v18
	v_add_co_ci_u32_e32 v15, vcc_lo, s2, v17, vcc_lo
	v_add_co_u32 v16, vcc_lo, v14, 4
	s_delay_alu instid0(VALU_DEP_3) | instskip(NEXT) | instid1(VALU_DEP_3)
	v_lshlrev_b64 v[18:19], 2, v[18:19]
	v_add_co_ci_u32_e32 v17, vcc_lo, 0, v15, vcc_lo
	s_mov_b32 s2, s3
	s_delay_alu instid0(VALU_DEP_2) | instskip(NEXT) | instid1(VALU_DEP_3)
	v_add_co_u32 v18, vcc_lo, s24, v18
	v_add_co_ci_u32_e32 v19, vcc_lo, s25, v19, vcc_lo
	s_branch .LBB4_41
.LBB4_39:                               ;   in Loop: Header=BB4_41 Depth=1
	s_or_b32 exec_lo, exec_lo, s0
.LBB4_40:                               ;   in Loop: Header=BB4_41 Depth=1
	s_delay_alu instid0(SALU_CYCLE_1) | instskip(SKIP_1) | instid1(SALU_CYCLE_1)
	s_or_b32 exec_lo, exec_lo, s15
	s_add_i32 s2, s2, 1
	v_cmp_eq_u32_e32 vcc_lo, s2, v9
	s_or_b32 s14, vcc_lo, s14
	s_delay_alu instid0(SALU_CYCLE_1)
	s_and_not1_b32 exec_lo, exec_lo, s14
	s_cbranch_execz .LBB4_51
.LBB4_41:                               ; =>This Loop Header: Depth=1
                                        ;     Child Loop BB4_43 Depth 2
                                        ;     Child Loop BB4_48 Depth 2
	s_lshl_b64 s[6:7], s[2:3], 2
	v_dual_mov_b32 v23, v13 :: v_dual_mov_b32 v22, v12
	v_add_co_u32 v20, vcc_lo, v24, s6
	v_add_co_ci_u32_e32 v21, vcc_lo, s7, v26, vcc_lo
	s_mov_b32 s15, 0
	s_mov_b32 s19, 0
                                        ; implicit-def: $sgpr16
                                        ; implicit-def: $sgpr18
                                        ; implicit-def: $sgpr17
	global_load_b32 v31, v[20:21], off
	s_set_inst_prefetch_distance 0x1
	s_branch .LBB4_43
	.p2align	6
.LBB4_42:                               ;   in Loop: Header=BB4_43 Depth=2
	s_or_b32 exec_lo, exec_lo, s21
	s_delay_alu instid0(SALU_CYCLE_1)
	s_and_b32 s0, exec_lo, s18
	v_mov_b32_e32 v32, s19
	s_or_b32 s15, s0, s15
	s_and_not1_b32 s0, s16, exec_lo
	s_and_b32 s16, s17, exec_lo
	s_mov_b32 s19, s20
	s_or_b32 s16, s0, s16
	s_and_not1_b32 exec_lo, exec_lo, s15
	s_cbranch_execz .LBB4_45
.LBB4_43:                               ;   Parent Loop BB4_41 Depth=1
                                        ; =>  This Inner Loop Header: Depth=2
	global_load_b32 v11, v[22:23], off
	v_dual_mov_b32 v20, v22 :: v_dual_mov_b32 v21, v23
	s_or_b32 s17, s17, exec_lo
	s_or_b32 s18, s18, exec_lo
	s_mov_b32 s21, exec_lo
                                        ; implicit-def: $sgpr20
                                        ; implicit-def: $vgpr22_vgpr23
	s_waitcnt vmcnt(0)
	v_cmpx_neq_f32_e32 v31, v11
	s_cbranch_execz .LBB4_42
; %bb.44:                               ;   in Loop: Header=BB4_43 Depth=2
	s_add_i32 s20, s19, 1
	v_add_co_u32 v22, s0, v20, 4
	v_cmp_eq_u32_e32 vcc_lo, s20, v9
	v_add_co_ci_u32_e64 v23, s0, 0, v21, s0
	s_and_not1_b32 s0, s18, exec_lo
	s_and_not1_b32 s17, s17, exec_lo
	s_and_b32 s18, vcc_lo, exec_lo
	s_delay_alu instid0(SALU_CYCLE_1)
	s_or_b32 s18, s0, s18
	s_branch .LBB4_42
.LBB4_45:                               ;   in Loop: Header=BB4_41 Depth=1
	s_set_inst_prefetch_distance 0x2
	s_or_b32 exec_lo, exec_lo, s15
	s_and_saveexec_b32 s0, s16
	s_delay_alu instid0(SALU_CYCLE_1)
	s_xor_b32 s15, exec_lo, s0
	s_cbranch_execz .LBB4_40
; %bb.46:                               ;   in Loop: Header=BB4_41 Depth=1
	v_cmp_eq_u32_e32 vcc_lo, v32, v29
	v_dual_cndmask_b32 v21, v21, v30 :: v_dual_cndmask_b32 v20, v20, v8
	s_and_not1_b32 vcc_lo, exec_lo, s11
	global_load_b32 v20, v[20:21], off offset:4
	global_load_b32 v21, v[14:15], off
	s_waitcnt vmcnt(1)
	v_sub_f32_e32 v11, v20, v11
	s_delay_alu instid0(VALU_DEP_1) | instskip(SKIP_1) | instid1(VALU_DEP_1)
	v_fma_f32 v32, 0.5, v11, v31
	s_waitcnt vmcnt(0)
	v_sub_f32_e32 v22, v21, v32
	s_delay_alu instid0(VALU_DEP_1) | instskip(NEXT) | instid1(VALU_DEP_1)
	v_cmp_le_f32_e64 s0, v22, v25
	v_cndmask_b32_e64 v11, 0, 1, s0
	s_cbranch_vccnz .LBB4_49
; %bb.47:                               ;   in Loop: Header=BB4_41 Depth=1
	v_cmp_gt_f32_e64 s16, v22, -v25
	v_dual_mov_b32 v21, v17 :: v_dual_mov_b32 v20, v16
	s_delay_alu instid0(VALU_DEP_2)
	s_and_b32 s0, s0, s16
	s_mov_b32 s16, s1
	v_cndmask_b32_e64 v33, v22, -v25, s0
	v_dual_mov_b32 v23, v19 :: v_dual_mov_b32 v22, v18
	s_set_inst_prefetch_distance 0x1
	.p2align	6
.LBB4_48:                               ;   Parent Loop BB4_41 Depth=1
                                        ; =>  This Inner Loop Header: Depth=2
	global_load_b32 v34, v[22:23], off
	global_load_b32 v35, v[20:21], off
	s_add_i32 s16, s16, -1
	s_waitcnt vmcnt(1)
	v_div_scale_f32 v36, null, v33, v33, v34
	v_div_scale_f32 v39, vcc_lo, v34, v33, v34
	s_waitcnt vmcnt(0)
	v_sub_f32_e32 v35, v35, v32
	s_delay_alu instid0(VALU_DEP_3) | instskip(SKIP_2) | instid1(VALU_DEP_1)
	v_rcp_f32_e32 v37, v36
	s_waitcnt_depctr 0xfff
	v_fma_f32 v38, -v36, v37, 1.0
	v_fmac_f32_e32 v37, v38, v37
	s_delay_alu instid0(VALU_DEP_1) | instskip(NEXT) | instid1(VALU_DEP_1)
	v_mul_f32_e32 v38, v39, v37
	v_fma_f32 v40, -v36, v38, v39
	s_delay_alu instid0(VALU_DEP_1) | instskip(NEXT) | instid1(VALU_DEP_1)
	v_fmac_f32_e32 v38, v40, v37
	v_fma_f32 v36, -v36, v38, v39
	s_delay_alu instid0(VALU_DEP_1) | instskip(SKIP_2) | instid1(VALU_DEP_3)
	v_div_fmas_f32 v36, v36, v37, v38
	v_add_co_u32 v22, vcc_lo, v22, 4
	v_add_co_ci_u32_e32 v23, vcc_lo, 0, v23, vcc_lo
	v_div_fixup_f32 v33, v36, v33, v34
	v_add_co_u32 v20, vcc_lo, v20, 4
	v_add_co_ci_u32_e32 v21, vcc_lo, 0, v21, vcc_lo
	s_delay_alu instid0(VALU_DEP_3) | instskip(NEXT) | instid1(VALU_DEP_1)
	v_sub_f32_e32 v33, v35, v33
	v_cmp_le_f32_e64 s0, v33, v25
	v_cmp_gt_f32_e64 s17, v33, -v25
	s_delay_alu instid0(VALU_DEP_2) | instskip(NEXT) | instid1(VALU_DEP_2)
	v_add_co_ci_u32_e64 v11, vcc_lo, 0, v11, s0
	s_and_b32 s0, s0, s17
	s_cmp_lg_u32 s16, 0
	v_cndmask_b32_e64 v33, v33, -v25, s0
	s_cbranch_scc1 .LBB4_48
.LBB4_49:                               ;   in Loop: Header=BB4_41 Depth=1
	s_set_inst_prefetch_distance 0x2
	s_delay_alu instid0(VALU_DEP_1) | instskip(SKIP_1) | instid1(VALU_DEP_1)
	v_cmp_le_i32_e32 vcc_lo, s31, v11
	v_cmp_ge_i32_e64 s0, s33, v11
	s_and_b32 s16, vcc_lo, s0
	s_delay_alu instid0(SALU_CYCLE_1)
	s_and_saveexec_b32 s0, s16
	s_cbranch_execz .LBB4_39
; %bb.50:                               ;   in Loop: Header=BB4_41 Depth=1
	v_add_co_u32 v20, vcc_lo, v27, s6
	v_add_co_ci_u32_e32 v21, vcc_lo, s7, v28, vcc_lo
	v_ashrrev_i32_e32 v11, 31, v10
	global_load_b32 v32, v[20:21], off
	v_lshlrev_b64 v[20:21], 2, v[10:11]
	v_add_nc_u32_e32 v10, 1, v10
	s_delay_alu instid0(VALU_DEP_2) | instskip(NEXT) | instid1(VALU_DEP_3)
	v_add_co_u32 v22, vcc_lo, v0, v20
	v_add_co_ci_u32_e32 v23, vcc_lo, v1, v21, vcc_lo
	v_add_co_u32 v20, vcc_lo, v2, v20
	v_add_co_ci_u32_e32 v21, vcc_lo, v3, v21, vcc_lo
	global_store_b32 v[22:23], v31, off
	s_waitcnt vmcnt(0)
	global_store_b32 v[20:21], v32, off
	s_branch .LBB4_39
.LBB4_51:
	s_or_b32 exec_lo, exec_lo, s14
.LBB4_52:
	s_delay_alu instid0(SALU_CYCLE_1)
	s_or_b32 exec_lo, exec_lo, s10
.LBB4_53:
	v_add_co_u32 v6, vcc_lo, s4, v6
	v_add_co_ci_u32_e32 v7, vcc_lo, s5, v7, vcc_lo
	v_cmp_lt_i32_e32 vcc_lo, 1, v10
	s_cmpk_eq_i32 s29, 0xf2
	s_mov_b32 s2, 1
	s_cselect_b32 s0, -1, 0
	global_store_b32 v[6:7], v10, off
	s_and_b32 s0, s0, vcc_lo
	s_delay_alu instid0(SALU_CYCLE_1)
	s_and_b32 exec_lo, exec_lo, s0
	s_cbranch_execz .LBB4_61
; %bb.54:
	v_add_co_u32 v13, vcc_lo, v0, -4
	v_add_co_ci_u32_e32 v14, vcc_lo, -1, v1, vcc_lo
	v_add_co_u32 v4, vcc_lo, v4, s8
	v_add_co_ci_u32_e32 v5, vcc_lo, s9, v5, vcc_lo
	v_add_co_u32 v15, vcc_lo, v2, -4
	v_add_co_ci_u32_e32 v16, vcc_lo, -1, v3, vcc_lo
	s_delay_alu instid0(VALU_DEP_4) | instskip(NEXT) | instid1(VALU_DEP_4)
	v_add_co_u32 v4, vcc_lo, v4, 4
	v_add_co_ci_u32_e32 v5, vcc_lo, 0, v5, vcc_lo
	s_cmp_lg_u64 s[12:13], 0
	s_mov_b32 s6, 0
	s_cselect_b32 s1, -1, 0
	s_branch .LBB4_56
.LBB4_55:                               ;   in Loop: Header=BB4_56 Depth=1
	s_or_b32 exec_lo, exec_lo, s0
	s_add_i32 s2, s2, 1
	v_add_co_u32 v4, s0, v4, 4
	v_cmp_eq_u32_e32 vcc_lo, s2, v10
	v_add_co_ci_u32_e64 v5, s0, 0, v5, s0
	s_or_b32 s6, vcc_lo, s6
	s_delay_alu instid0(SALU_CYCLE_1)
	s_and_not1_b32 exec_lo, exec_lo, s6
	s_cbranch_execz .LBB4_61
.LBB4_56:                               ; =>This Loop Header: Depth=1
                                        ;     Child Loop BB4_57 Depth 2
	s_ashr_i32 s3, s2, 31
	v_mov_b32_e32 v12, v5
	s_lshl_b64 s[4:5], s[2:3], 2
	s_add_i32 s3, s2, -1
	v_add_co_u32 v6, vcc_lo, v13, s4
	v_add_co_ci_u32_e32 v7, vcc_lo, s5, v14, vcc_lo
	v_dual_mov_b32 v8, s3 :: v_dual_mov_b32 v11, v4
	s_mov_b32 s7, 0
	global_load_b32 v17, v[6:7], off
	s_mov_b32 s8, s2
	s_waitcnt vmcnt(0)
	v_mov_b32_e32 v18, v17
.LBB4_57:                               ;   Parent Loop BB4_56 Depth=1
                                        ; =>  This Inner Loop Header: Depth=2
	global_load_b32 v9, v[11:12], off
	v_add_co_u32 v11, s0, v11, 4
	s_delay_alu instid0(VALU_DEP_1)
	v_add_co_ci_u32_e64 v12, s0, 0, v12, s0
	s_waitcnt vmcnt(0)
	v_cmp_lt_f32_e32 vcc_lo, v9, v18
	v_cndmask_b32_e64 v8, v8, s8, vcc_lo
	s_add_i32 s8, s8, 1
	v_cndmask_b32_e32 v18, v18, v9, vcc_lo
	v_cmp_ge_i32_e32 vcc_lo, s8, v10
	s_or_b32 s7, vcc_lo, s7
	s_delay_alu instid0(SALU_CYCLE_1)
	s_and_not1_b32 exec_lo, exec_lo, s7
	s_cbranch_execnz .LBB4_57
; %bb.58:                               ;   in Loop: Header=BB4_56 Depth=1
	s_or_b32 exec_lo, exec_lo, s7
	s_delay_alu instid0(SALU_CYCLE_1)
	s_mov_b32 s0, exec_lo
	v_cmpx_ne_u32_e64 s3, v8
	s_cbranch_execz .LBB4_55
; %bb.59:                               ;   in Loop: Header=BB4_56 Depth=1
	v_ashrrev_i32_e32 v9, 31, v8
	s_delay_alu instid0(VALU_DEP_1) | instskip(NEXT) | instid1(VALU_DEP_1)
	v_lshlrev_b64 v[8:9], 2, v[8:9]
	v_add_co_u32 v11, vcc_lo, v0, v8
	s_delay_alu instid0(VALU_DEP_2)
	v_add_co_ci_u32_e32 v12, vcc_lo, v1, v9, vcc_lo
	s_and_not1_b32 vcc_lo, exec_lo, s1
	s_clause 0x1
	global_store_b32 v[11:12], v17, off
	global_store_b32 v[6:7], v18, off
	s_cbranch_vccnz .LBB4_55
; %bb.60:                               ;   in Loop: Header=BB4_56 Depth=1
	v_add_co_u32 v6, vcc_lo, v15, s4
	v_add_co_ci_u32_e32 v7, vcc_lo, s5, v16, vcc_lo
	v_add_co_u32 v8, vcc_lo, v2, v8
	v_add_co_ci_u32_e32 v9, vcc_lo, v3, v9, vcc_lo
	s_clause 0x1
	global_load_b32 v11, v[6:7], off
	global_load_b32 v12, v[8:9], off
	s_waitcnt vmcnt(1)
	global_store_b32 v[8:9], v11, off
	s_waitcnt vmcnt(0)
	global_store_b32 v[6:7], v12, off
	s_branch .LBB4_55
.LBB4_61:
	s_nop 0
	s_sendmsg sendmsg(MSG_DEALLOC_VGPRS)
	s_endpgm
	.section	.rodata,"a",@progbits
	.p2align	6, 0x0
	.amdhsa_kernel _ZN9rocsolver6v33100L22stebz_synthesis_kernelIfPfEEv15rocblas_erange_15rocblas_eorder_iiiT0_iiPiS6_PT_lS6_lS6_liS6_S8_S8_S8_S8_S6_S7_
		.amdhsa_group_segment_fixed_size 0
		.amdhsa_private_segment_fixed_size 0
		.amdhsa_kernarg_size 424
		.amdhsa_user_sgpr_count 15
		.amdhsa_user_sgpr_dispatch_ptr 0
		.amdhsa_user_sgpr_queue_ptr 0
		.amdhsa_user_sgpr_kernarg_segment_ptr 1
		.amdhsa_user_sgpr_dispatch_id 0
		.amdhsa_user_sgpr_private_segment_size 0
		.amdhsa_wavefront_size32 1
		.amdhsa_uses_dynamic_stack 0
		.amdhsa_enable_private_segment 0
		.amdhsa_system_sgpr_workgroup_id_x 1
		.amdhsa_system_sgpr_workgroup_id_y 0
		.amdhsa_system_sgpr_workgroup_id_z 0
		.amdhsa_system_sgpr_workgroup_info 0
		.amdhsa_system_vgpr_workitem_id 0
		.amdhsa_next_free_vgpr 42
		.amdhsa_next_free_sgpr 34
		.amdhsa_reserve_vcc 1
		.amdhsa_float_round_mode_32 0
		.amdhsa_float_round_mode_16_64 0
		.amdhsa_float_denorm_mode_32 3
		.amdhsa_float_denorm_mode_16_64 3
		.amdhsa_dx10_clamp 1
		.amdhsa_ieee_mode 1
		.amdhsa_fp16_overflow 0
		.amdhsa_workgroup_processor_mode 1
		.amdhsa_memory_ordered 1
		.amdhsa_forward_progress 0
		.amdhsa_shared_vgpr_count 0
		.amdhsa_exception_fp_ieee_invalid_op 0
		.amdhsa_exception_fp_denorm_src 0
		.amdhsa_exception_fp_ieee_div_zero 0
		.amdhsa_exception_fp_ieee_overflow 0
		.amdhsa_exception_fp_ieee_underflow 0
		.amdhsa_exception_fp_ieee_inexact 0
		.amdhsa_exception_int_div_zero 0
	.end_amdhsa_kernel
	.section	.text._ZN9rocsolver6v33100L22stebz_synthesis_kernelIfPfEEv15rocblas_erange_15rocblas_eorder_iiiT0_iiPiS6_PT_lS6_lS6_liS6_S8_S8_S8_S8_S6_S7_,"axG",@progbits,_ZN9rocsolver6v33100L22stebz_synthesis_kernelIfPfEEv15rocblas_erange_15rocblas_eorder_iiiT0_iiPiS6_PT_lS6_lS6_liS6_S8_S8_S8_S8_S6_S7_,comdat
.Lfunc_end4:
	.size	_ZN9rocsolver6v33100L22stebz_synthesis_kernelIfPfEEv15rocblas_erange_15rocblas_eorder_iiiT0_iiPiS6_PT_lS6_lS6_liS6_S8_S8_S8_S8_S6_S7_, .Lfunc_end4-_ZN9rocsolver6v33100L22stebz_synthesis_kernelIfPfEEv15rocblas_erange_15rocblas_eorder_iiiT0_iiPiS6_PT_lS6_lS6_liS6_S8_S8_S8_S8_S6_S7_
                                        ; -- End function
	.section	.AMDGPU.csdata,"",@progbits
; Kernel info:
; codeLenInByte = 3264
; NumSgprs: 36
; NumVgprs: 42
; ScratchSize: 0
; MemoryBound: 0
; FloatMode: 240
; IeeeMode: 1
; LDSByteSize: 0 bytes/workgroup (compile time only)
; SGPRBlocks: 4
; VGPRBlocks: 5
; NumSGPRsForWavesPerEU: 36
; NumVGPRsForWavesPerEU: 42
; Occupancy: 16
; WaveLimiterHint : 1
; COMPUTE_PGM_RSRC2:SCRATCH_EN: 0
; COMPUTE_PGM_RSRC2:USER_SGPR: 15
; COMPUTE_PGM_RSRC2:TRAP_HANDLER: 0
; COMPUTE_PGM_RSRC2:TGID_X_EN: 1
; COMPUTE_PGM_RSRC2:TGID_Y_EN: 0
; COMPUTE_PGM_RSRC2:TGID_Z_EN: 0
; COMPUTE_PGM_RSRC2:TIDIG_COMP_CNT: 0
	.section	.text._ZN9rocsolver6v33100L18stebz_case1_kernelIdPdEEv15rocblas_erange_T_S4_T0_ilPiS6_PS4_lS6_lS6_li,"axG",@progbits,_ZN9rocsolver6v33100L18stebz_case1_kernelIdPdEEv15rocblas_erange_T_S4_T0_ilPiS6_PS4_lS6_lS6_li,comdat
	.globl	_ZN9rocsolver6v33100L18stebz_case1_kernelIdPdEEv15rocblas_erange_T_S4_T0_ilPiS6_PS4_lS6_lS6_li ; -- Begin function _ZN9rocsolver6v33100L18stebz_case1_kernelIdPdEEv15rocblas_erange_T_S4_T0_ilPiS6_PS4_lS6_lS6_li
	.p2align	8
	.type	_ZN9rocsolver6v33100L18stebz_case1_kernelIdPdEEv15rocblas_erange_T_S4_T0_ilPiS6_PS4_lS6_lS6_li,@function
_ZN9rocsolver6v33100L18stebz_case1_kernelIdPdEEv15rocblas_erange_T_S4_T0_ilPiS6_PS4_lS6_lS6_li: ; @_ZN9rocsolver6v33100L18stebz_case1_kernelIdPdEEv15rocblas_erange_T_S4_T0_ilPiS6_PS4_lS6_lS6_li
; %bb.0:
	s_clause 0x1
	s_load_b32 s2, s[0:1], 0x84
	s_load_b32 s3, s[0:1], 0x70
	s_waitcnt lgkmcnt(0)
	s_and_b32 s2, s2, 0xffff
	s_delay_alu instid0(SALU_CYCLE_1) | instskip(SKIP_1) | instid1(VALU_DEP_1)
	v_mad_u64_u32 v[1:2], null, s15, s2, v[0:1]
	s_mov_b32 s2, exec_lo
	v_cmpx_gt_i32_e64 s3, v1
	s_cbranch_execz .LBB5_7
; %bb.1:
	s_clause 0x1
	s_load_b512 s[4:19], s[0:1], 0x28
	s_load_b32 s2, s[0:1], 0x20
	v_ashrrev_i32_e32 v2, 31, v1
	s_load_b64 s[20:21], s[0:1], 0x18
	s_waitcnt lgkmcnt(0)
	v_mul_lo_u32 v0, v1, s5
	s_delay_alu instid0(VALU_DEP_2) | instskip(SKIP_2) | instid1(SALU_CYCLE_1)
	v_mul_lo_u32 v5, v2, s4
	v_mad_u64_u32 v[3:4], null, v1, s4, 0
	s_ashr_i32 s3, s2, 31
	s_lshl_b64 s[2:3], s[2:3], 3
	s_delay_alu instid0(SALU_CYCLE_1) | instskip(SKIP_1) | instid1(VALU_DEP_1)
	s_add_u32 s2, s2, s20
	s_addc_u32 s3, s3, s21
	v_add3_u32 v4, v4, v0, v5
	s_delay_alu instid0(VALU_DEP_1) | instskip(NEXT) | instid1(VALU_DEP_1)
	v_lshlrev_b64 v[3:4], 3, v[3:4]
	v_add_co_u32 v3, vcc_lo, s2, v3
	s_delay_alu instid0(VALU_DEP_2)
	v_add_co_ci_u32_e32 v4, vcc_lo, s3, v4, vcc_lo
	s_load_b64 s[2:3], s[0:1], 0x68
	global_load_b64 v[5:6], v[3:4], off
	s_waitcnt lgkmcnt(0)
	v_mul_lo_u32 v0, v1, s3
	v_mul_lo_u32 v3, v2, s2
	v_mad_u64_u32 v[7:8], null, v1, s2, 0
	s_load_b32 s2, s[0:1], 0x0
	s_delay_alu instid0(VALU_DEP_1) | instskip(SKIP_2) | instid1(VALU_DEP_3)
	v_add3_u32 v8, v8, v0, v3
	v_lshlrev_b64 v[3:4], 2, v[1:2]
	v_mov_b32_e32 v0, 1
	v_lshlrev_b64 v[7:8], 2, v[7:8]
	s_delay_alu instid0(VALU_DEP_3) | instskip(NEXT) | instid1(VALU_DEP_4)
	v_add_co_u32 v9, vcc_lo, s8, v3
	v_add_co_ci_u32_e32 v10, vcc_lo, s9, v4, vcc_lo
	s_delay_alu instid0(VALU_DEP_3) | instskip(NEXT) | instid1(VALU_DEP_4)
	v_add_co_u32 v7, vcc_lo, s18, v7
	v_add_co_ci_u32_e32 v8, vcc_lo, s19, v8, vcc_lo
	s_waitcnt lgkmcnt(0)
	s_cmpk_lg_i32 s2, 0xe8
	global_store_b32 v[9:10], v0, off
	s_cselect_b32 s2, -1, 0
	global_store_b32 v[7:8], v0, off
	s_and_b32 vcc_lo, exec_lo, s2
	s_cbranch_vccnz .LBB5_3
; %bb.2:
	s_load_b128 s[20:23], s[0:1], 0x8
	s_and_not1_b32 s1, s2, exec_lo
	s_waitcnt vmcnt(0) lgkmcnt(0)
	v_cmp_nge_f64_e32 vcc_lo, s[20:21], v[5:6]
	v_cmp_nlt_f64_e64 s0, s[22:23], v[5:6]
	s_delay_alu instid0(VALU_DEP_1) | instskip(NEXT) | instid1(SALU_CYCLE_1)
	s_and_b32 s0, vcc_lo, s0
	s_and_b32 s2, s0, exec_lo
	s_mov_b32 s0, -1
	s_or_b32 s2, s1, s2
	s_delay_alu instid0(SALU_CYCLE_1) | instskip(NEXT) | instid1(SALU_CYCLE_1)
	s_and_saveexec_b32 s1, s2
	s_xor_b32 s1, exec_lo, s1
	s_cbranch_execnz .LBB5_4
	s_branch .LBB5_5
.LBB5_3:
	s_mov_b32 s0, 0
	s_and_saveexec_b32 s1, s2
	s_delay_alu instid0(SALU_CYCLE_1)
	s_xor_b32 s1, exec_lo, s1
	s_cbranch_execz .LBB5_5
.LBB5_4:
	v_mul_lo_u32 v0, v2, s12
	v_mul_lo_u32 v11, v1, s13
	v_mad_u64_u32 v[7:8], null, v1, s12, 0
	v_mul_lo_u32 v2, v2, s16
	v_mul_lo_u32 v12, v1, s17
	v_mad_u64_u32 v[9:10], null, v1, s16, 0
	s_and_not1_b32 s0, s0, exec_lo
	s_delay_alu instid0(VALU_DEP_4) | instskip(NEXT) | instid1(VALU_DEP_2)
	v_add3_u32 v8, v8, v11, v0
	v_add3_u32 v10, v10, v12, v2
	s_delay_alu instid0(VALU_DEP_2) | instskip(SKIP_2) | instid1(VALU_DEP_4)
	v_lshlrev_b64 v[0:1], 3, v[7:8]
	v_add_co_u32 v7, vcc_lo, s6, v3
	v_add_co_ci_u32_e32 v8, vcc_lo, s7, v4, vcc_lo
	v_lshlrev_b64 v[9:10], 2, v[9:10]
	s_delay_alu instid0(VALU_DEP_4) | instskip(SKIP_2) | instid1(VALU_DEP_4)
	v_add_co_u32 v0, vcc_lo, s10, v0
	v_add_co_ci_u32_e32 v1, vcc_lo, s11, v1, vcc_lo
	v_mov_b32_e32 v2, 1
	v_add_co_u32 v9, vcc_lo, s14, v9
	v_add_co_ci_u32_e32 v10, vcc_lo, s15, v10, vcc_lo
	global_store_b32 v[7:8], v2, off
	s_waitcnt vmcnt(0)
	global_store_b64 v[0:1], v[5:6], off
	global_store_b32 v[9:10], v2, off
.LBB5_5:
	s_or_b32 exec_lo, exec_lo, s1
	s_delay_alu instid0(SALU_CYCLE_1)
	s_and_b32 exec_lo, exec_lo, s0
	s_cbranch_execz .LBB5_7
; %bb.6:
	v_add_co_u32 v0, vcc_lo, s6, v3
	v_add_co_ci_u32_e32 v1, vcc_lo, s7, v4, vcc_lo
	v_mov_b32_e32 v2, 0
	global_store_b32 v[0:1], v2, off
.LBB5_7:
	s_nop 0
	s_sendmsg sendmsg(MSG_DEALLOC_VGPRS)
	s_endpgm
	.section	.rodata,"a",@progbits
	.p2align	6, 0x0
	.amdhsa_kernel _ZN9rocsolver6v33100L18stebz_case1_kernelIdPdEEv15rocblas_erange_T_S4_T0_ilPiS6_PS4_lS6_lS6_li
		.amdhsa_group_segment_fixed_size 0
		.amdhsa_private_segment_fixed_size 0
		.amdhsa_kernarg_size 376
		.amdhsa_user_sgpr_count 15
		.amdhsa_user_sgpr_dispatch_ptr 0
		.amdhsa_user_sgpr_queue_ptr 0
		.amdhsa_user_sgpr_kernarg_segment_ptr 1
		.amdhsa_user_sgpr_dispatch_id 0
		.amdhsa_user_sgpr_private_segment_size 0
		.amdhsa_wavefront_size32 1
		.amdhsa_uses_dynamic_stack 0
		.amdhsa_enable_private_segment 0
		.amdhsa_system_sgpr_workgroup_id_x 1
		.amdhsa_system_sgpr_workgroup_id_y 0
		.amdhsa_system_sgpr_workgroup_id_z 0
		.amdhsa_system_sgpr_workgroup_info 0
		.amdhsa_system_vgpr_workitem_id 0
		.amdhsa_next_free_vgpr 13
		.amdhsa_next_free_sgpr 24
		.amdhsa_reserve_vcc 1
		.amdhsa_float_round_mode_32 0
		.amdhsa_float_round_mode_16_64 0
		.amdhsa_float_denorm_mode_32 3
		.amdhsa_float_denorm_mode_16_64 3
		.amdhsa_dx10_clamp 1
		.amdhsa_ieee_mode 1
		.amdhsa_fp16_overflow 0
		.amdhsa_workgroup_processor_mode 1
		.amdhsa_memory_ordered 1
		.amdhsa_forward_progress 0
		.amdhsa_shared_vgpr_count 0
		.amdhsa_exception_fp_ieee_invalid_op 0
		.amdhsa_exception_fp_denorm_src 0
		.amdhsa_exception_fp_ieee_div_zero 0
		.amdhsa_exception_fp_ieee_overflow 0
		.amdhsa_exception_fp_ieee_underflow 0
		.amdhsa_exception_fp_ieee_inexact 0
		.amdhsa_exception_int_div_zero 0
	.end_amdhsa_kernel
	.section	.text._ZN9rocsolver6v33100L18stebz_case1_kernelIdPdEEv15rocblas_erange_T_S4_T0_ilPiS6_PS4_lS6_lS6_li,"axG",@progbits,_ZN9rocsolver6v33100L18stebz_case1_kernelIdPdEEv15rocblas_erange_T_S4_T0_ilPiS6_PS4_lS6_lS6_li,comdat
.Lfunc_end5:
	.size	_ZN9rocsolver6v33100L18stebz_case1_kernelIdPdEEv15rocblas_erange_T_S4_T0_ilPiS6_PS4_lS6_lS6_li, .Lfunc_end5-_ZN9rocsolver6v33100L18stebz_case1_kernelIdPdEEv15rocblas_erange_T_S4_T0_ilPiS6_PS4_lS6_lS6_li
                                        ; -- End function
	.section	.AMDGPU.csdata,"",@progbits
; Kernel info:
; codeLenInByte = 636
; NumSgprs: 26
; NumVgprs: 13
; ScratchSize: 0
; MemoryBound: 0
; FloatMode: 240
; IeeeMode: 1
; LDSByteSize: 0 bytes/workgroup (compile time only)
; SGPRBlocks: 3
; VGPRBlocks: 1
; NumSGPRsForWavesPerEU: 26
; NumVGPRsForWavesPerEU: 13
; Occupancy: 16
; WaveLimiterHint : 0
; COMPUTE_PGM_RSRC2:SCRATCH_EN: 0
; COMPUTE_PGM_RSRC2:USER_SGPR: 15
; COMPUTE_PGM_RSRC2:TRAP_HANDLER: 0
; COMPUTE_PGM_RSRC2:TGID_X_EN: 1
; COMPUTE_PGM_RSRC2:TGID_Y_EN: 0
; COMPUTE_PGM_RSRC2:TGID_Z_EN: 0
; COMPUTE_PGM_RSRC2:TIDIG_COMP_CNT: 0
	.section	.text._ZN9rocsolver6v33100L22stebz_splitting_kernelIdPdEEv15rocblas_erange_iT_S4_iiT0_iiS5_iiPiPS4_lS6_lS6_S7_S7_S7_S7_S6_S4_S4_,"axG",@progbits,_ZN9rocsolver6v33100L22stebz_splitting_kernelIdPdEEv15rocblas_erange_iT_S4_iiT0_iiS5_iiPiPS4_lS6_lS6_S7_S7_S7_S7_S6_S4_S4_,comdat
	.globl	_ZN9rocsolver6v33100L22stebz_splitting_kernelIdPdEEv15rocblas_erange_iT_S4_iiT0_iiS5_iiPiPS4_lS6_lS6_S7_S7_S7_S7_S6_S4_S4_ ; -- Begin function _ZN9rocsolver6v33100L22stebz_splitting_kernelIdPdEEv15rocblas_erange_iT_S4_iiT0_iiS5_iiPiPS4_lS6_lS6_S7_S7_S7_S7_S6_S4_S4_
	.p2align	8
	.type	_ZN9rocsolver6v33100L22stebz_splitting_kernelIdPdEEv15rocblas_erange_iT_S4_iiT0_iiS5_iiPiPS4_lS6_lS6_S7_S7_S7_S7_S6_S4_S4_,@function
_ZN9rocsolver6v33100L22stebz_splitting_kernelIdPdEEv15rocblas_erange_iT_S4_iiT0_iiS5_iiPiPS4_lS6_lS6_S7_S7_S7_S7_S6_S4_S4_: ; @_ZN9rocsolver6v33100L22stebz_splitting_kernelIdPdEEv15rocblas_erange_iT_S4_iiT0_iiS5_iiPiPS4_lS6_lS6_S7_S7_S7_S7_S6_S4_S4_
; %bb.0:
	s_load_b64 s[34:35], s[0:1], 0x0
	v_lshlrev_b32_e32 v1, 2, v0
	v_mov_b32_e32 v3, 0
	s_mov_b32 s40, s15
	s_waitcnt lgkmcnt(0)
	s_add_i32 s33, s35, -1
	s_delay_alu instid0(SALU_CYCLE_1) | instskip(NEXT) | instid1(SALU_CYCLE_1)
	s_ashr_i32 s2, s33, 31
	s_lshr_b32 s2, s2, 24
	s_delay_alu instid0(SALU_CYCLE_1) | instskip(NEXT) | instid1(SALU_CYCLE_1)
	s_add_i32 s2, s33, s2
	s_and_b32 s3, s2, 0xffffff00
	s_ashr_i32 s2, s2, 8
	s_sub_i32 s3, s33, s3
	s_delay_alu instid0(SALU_CYCLE_1)
	v_cmp_gt_i32_e32 vcc_lo, s3, v0
	v_add_co_ci_u32_e64 v20, null, s2, 0, vcc_lo
	v_cmp_eq_u32_e64 s2, 0, v0
	v_cmp_ne_u32_e32 vcc_lo, 0, v0
	ds_store_b32 v1, v20 offset:2048
	s_waitcnt lgkmcnt(0)
	s_barrier
	buffer_gl0_inv
	s_and_saveexec_b32 s4, vcc_lo
	s_cbranch_execz .LBB6_10
; %bb.1:
	v_dual_mov_b32 v3, 0 :: v_dual_mov_b32 v2, 0
	s_mov_b32 s6, 0
	s_mov_b32 s5, exec_lo
	v_cmpx_lt_u32_e32 7, v0
	s_cbranch_execz .LBB6_5
; %bb.2:
	v_dual_mov_b32 v3, 0 :: v_dual_and_b32 v2, 0xf8, v0
	s_movk_i32 s7, 0x800
	s_mov_b32 s8, 0
	.p2align	6
.LBB6_3:                                ; =>This Inner Loop Header: Depth=1
	v_mov_b32_e32 v8, s7
	s_add_i32 s8, s8, 8
	s_add_i32 s7, s7, 32
	v_cmp_eq_u32_e64 s3, s8, v2
	ds_load_b128 v[4:7], v8
	ds_load_b128 v[8:11], v8 offset:16
	s_or_b32 s6, s3, s6
	s_waitcnt lgkmcnt(1)
	v_add_nc_u32_e32 v3, v4, v3
	s_delay_alu instid0(VALU_DEP_1) | instskip(NEXT) | instid1(VALU_DEP_1)
	v_add_nc_u32_e32 v3, v5, v3
	v_add_nc_u32_e32 v3, v6, v3
	s_delay_alu instid0(VALU_DEP_1) | instskip(SKIP_1) | instid1(VALU_DEP_1)
	v_add_nc_u32_e32 v3, v7, v3
	s_waitcnt lgkmcnt(0)
	v_add_nc_u32_e32 v3, v8, v3
	s_delay_alu instid0(VALU_DEP_1) | instskip(NEXT) | instid1(VALU_DEP_1)
	v_add_nc_u32_e32 v3, v9, v3
	v_add_nc_u32_e32 v3, v10, v3
	s_delay_alu instid0(VALU_DEP_1)
	v_add_nc_u32_e32 v3, v11, v3
	s_and_not1_b32 exec_lo, exec_lo, s6
	s_cbranch_execnz .LBB6_3
; %bb.4:
	s_or_b32 exec_lo, exec_lo, s6
.LBB6_5:
	s_delay_alu instid0(SALU_CYCLE_1) | instskip(SKIP_3) | instid1(VALU_DEP_1)
	s_or_b32 exec_lo, exec_lo, s5
	v_and_b32_e32 v4, 7, v0
	s_mov_b32 s6, 0
	s_mov_b32 s5, exec_lo
	v_cmpx_ne_u32_e32 0, v4
	s_cbranch_execz .LBB6_9
; %bb.6:
	v_lshl_or_b32 v2, v2, 2, 0x800
.LBB6_7:                                ; =>This Inner Loop Header: Depth=1
	ds_load_b32 v5, v2
	v_add_nc_u32_e32 v4, -1, v4
	v_add_nc_u32_e32 v2, 4, v2
	s_delay_alu instid0(VALU_DEP_2) | instskip(NEXT) | instid1(VALU_DEP_1)
	v_cmp_eq_u32_e64 s3, 0, v4
	s_or_b32 s6, s3, s6
	s_waitcnt lgkmcnt(0)
	v_add_nc_u32_e32 v3, v5, v3
	s_and_not1_b32 exec_lo, exec_lo, s6
	s_cbranch_execnz .LBB6_7
; %bb.8:
	s_or_b32 exec_lo, exec_lo, s6
.LBB6_9:
	s_delay_alu instid0(SALU_CYCLE_1)
	s_or_b32 exec_lo, exec_lo, s5
.LBB6_10:
	s_delay_alu instid0(SALU_CYCLE_1)
	s_or_b32 exec_lo, exec_lo, s4
	s_clause 0x3
	s_load_b128 s[36:39], s[0:1], 0x20
	s_load_b512 s[8:23], s[0:1], 0x40
	s_load_b64 s[42:43], s[0:1], 0xa0
	s_load_b256 s[24:31], s[0:1], 0x80
	v_ashrrev_i32_e32 v4, 31, v3
	s_mul_i32 s4, s40, s35
	v_or_b32_e32 v19, 0x800, v1
	s_ashr_i32 s5, s4, 31
	s_mul_i32 s44, s33, s40
	v_lshlrev_b64 v[1:2], 2, v[3:4]
	s_lshl_b64 s[4:5], s[4:5], 2
	s_ashr_i32 s41, s40, 31
	s_ashr_i32 s45, s44, 31
	v_mov_b32_e32 v5, 0
	s_waitcnt lgkmcnt(0)
	s_ashr_i32 s47, s38, 31
	s_mul_i32 s3, s40, s13
	s_mul_hi_u32 s6, s40, s12
	s_add_u32 s4, s18, s4
	s_addc_u32 s5, s19, s5
	s_add_i32 s6, s6, s3
	v_add_co_u32 v1, s3, s4, v1
	s_delay_alu instid0(VALU_DEP_1)
	v_add_co_ci_u32_e64 v2, s3, s5, v2, s3
	s_mul_i32 s7, s41, s12
	s_mov_b32 s46, s38
	s_mul_hi_i32 s49, s39, s40
	s_mul_i32 s48, s39, s40
	s_add_i32 s13, s6, s7
	s_mul_i32 s12, s40, s12
	s_mov_b32 s6, 0
	s_mov_b32 s5, exec_lo
	v_cmpx_lt_i32_e32 0, v20
	s_cbranch_execz .LBB6_16
; %bb.11:
	s_load_b128 s[52:55], s[0:1], 0x30
	v_lshlrev_b64 v[4:5], 3, v[3:4]
	s_waitcnt lgkmcnt(0)
	s_ashr_i32 s19, s54, 31
	s_mul_hi_i32 s39, s40, s55
	s_mul_i32 s38, s40, s55
	s_mov_b32 s18, s54
	s_lshl_b64 s[38:39], s[38:39], 3
	s_lshl_b64 s[18:19], s[18:19], 3
	s_delay_alu instid0(SALU_CYCLE_1)
	s_add_u32 s3, s38, s18
	s_addc_u32 s4, s39, s19
	s_add_u32 s3, s52, s3
	s_addc_u32 s4, s53, s4
	v_add_co_u32 v7, s3, s3, v4
	s_lshl_b64 s[18:19], s[48:49], 3
	s_lshl_b64 s[38:39], s[46:47], 3
	v_add_co_ci_u32_e64 v8, s3, s4, v5, s3
	s_add_u32 s3, s18, s38
	s_addc_u32 s4, s19, s39
	s_add_u32 s3, s36, s3
	s_addc_u32 s4, s37, s4
	v_add_co_u32 v9, s3, s3, v4
	s_lshl_b64 s[18:19], s[44:45], 3
	v_add_co_ci_u32_e64 v10, s3, s4, v5, s3
	s_add_u32 s3, s22, s18
	s_addc_u32 s4, s23, s19
	v_add_co_u32 v11, s3, s3, v4
	s_lshl_b64 s[18:19], s[12:13], 3
	v_add_co_ci_u32_e64 v12, s3, s4, v5, s3
	s_add_u32 s3, s10, s18
	s_addc_u32 s4, s11, s19
	v_add_co_u32 v13, s3, s3, v4
	s_delay_alu instid0(VALU_DEP_1)
	v_add_co_ci_u32_e64 v14, s3, s4, v5, s3
	v_mov_b32_e32 v5, 0
	s_branch .LBB6_13
.LBB6_12:                               ;   in Loop: Header=BB6_13 Depth=1
	s_or_b32 exec_lo, exec_lo, s4
	v_add_co_u32 v7, s3, v7, 8
	s_delay_alu instid0(VALU_DEP_1)
	v_add_co_ci_u32_e64 v8, s3, 0, v8, s3
	v_add_co_u32 v9, s3, v9, 8
	v_add_nc_u32_e32 v20, -1, v20
	v_add_co_ci_u32_e64 v10, s3, 0, v10, s3
	global_store_b64 v[11:12], v[17:18], off
	global_store_b64 v[13:14], v[15:16], off
	v_add_co_u32 v11, s3, v11, 8
	s_delay_alu instid0(VALU_DEP_1) | instskip(SKIP_4) | instid1(VALU_DEP_4)
	v_add_co_ci_u32_e64 v12, s3, 0, v12, s3
	v_cmp_eq_u32_e64 s3, 0, v20
	v_add_co_u32 v13, s4, v13, 8
	v_add_nc_u32_e32 v3, 1, v3
	v_add_co_ci_u32_e64 v14, s4, 0, v14, s4
	s_or_b32 s6, s3, s6
	s_delay_alu instid0(SALU_CYCLE_1)
	s_and_not1_b32 exec_lo, exec_lo, s6
	s_cbranch_execz .LBB6_15
.LBB6_13:                               ; =>This Inner Loop Header: Depth=1
	global_load_b128 v[21:24], v[9:10], off
	global_load_b64 v[15:16], v[7:8], off
	s_mov_b32 s4, exec_lo
	s_waitcnt vmcnt(1)
	v_mul_f64 v[17:18], v[21:22], v[23:24]
	s_delay_alu instid0(VALU_DEP_1) | instskip(SKIP_2) | instid1(VALU_DEP_2)
	v_mul_f64 v[21:22], |v[17:18]|, s[30:31]
	s_waitcnt vmcnt(0)
	v_mul_f64 v[17:18], v[15:16], v[15:16]
	v_fma_f64 v[21:22], v[21:22], s[30:31], s[42:43]
	s_delay_alu instid0(VALU_DEP_1)
	v_cmpx_gt_f64_e32 v[21:22], v[17:18]
	s_cbranch_execz .LBB6_12
; %bb.14:                               ;   in Loop: Header=BB6_13 Depth=1
	v_ashrrev_i32_e32 v6, 31, v5
	v_mov_b32_e32 v17, 0
	v_mov_b32_e32 v18, 0
	s_delay_alu instid0(VALU_DEP_3) | instskip(SKIP_1) | instid1(VALU_DEP_2)
	v_lshlrev_b64 v[15:16], 2, v[5:6]
	v_add_nc_u32_e32 v5, 1, v5
	v_add_co_u32 v21, s3, v1, v15
	s_delay_alu instid0(VALU_DEP_1)
	v_add_co_ci_u32_e64 v22, s3, v2, v16, s3
	v_dual_mov_b32 v15, v17 :: v_dual_mov_b32 v16, v18
	global_store_b32 v[21:22], v3, off
	s_branch .LBB6_12
.LBB6_15:
	s_or_b32 exec_lo, exec_lo, s6
.LBB6_16:
	s_delay_alu instid0(SALU_CYCLE_1)
	s_or_b32 exec_lo, exec_lo, s5
	v_mov_b32_e32 v3, 0
	ds_store_b32 v19, v5
	s_waitcnt lgkmcnt(0)
	s_waitcnt_vscnt null, 0x0
	s_barrier
	buffer_gl0_inv
	s_and_saveexec_b32 s3, vcc_lo
	s_cbranch_execz .LBB6_26
; %bb.17:
	v_dual_mov_b32 v3, 0 :: v_dual_mov_b32 v4, 0
	s_mov_b32 s5, 0
	s_mov_b32 s4, exec_lo
	v_cmpx_lt_u32_e32 7, v0
	s_cbranch_execz .LBB6_21
; %bb.18:
	v_dual_mov_b32 v3, 0 :: v_dual_and_b32 v4, 0xf8, v0
	s_movk_i32 s6, 0x800
	s_mov_b32 s7, 0
	.p2align	6
.LBB6_19:                               ; =>This Inner Loop Header: Depth=1
	v_mov_b32_e32 v10, s6
	s_add_i32 s7, s7, 8
	s_add_i32 s6, s6, 32
	v_cmp_eq_u32_e32 vcc_lo, s7, v4
	ds_load_b128 v[6:9], v10
	ds_load_b128 v[10:13], v10 offset:16
	s_or_b32 s5, vcc_lo, s5
	s_waitcnt lgkmcnt(1)
	v_add_nc_u32_e32 v3, v6, v3
	s_delay_alu instid0(VALU_DEP_1) | instskip(NEXT) | instid1(VALU_DEP_1)
	v_add_nc_u32_e32 v3, v7, v3
	v_add_nc_u32_e32 v3, v8, v3
	s_delay_alu instid0(VALU_DEP_1) | instskip(SKIP_1) | instid1(VALU_DEP_1)
	v_add_nc_u32_e32 v3, v9, v3
	s_waitcnt lgkmcnt(0)
	v_add_nc_u32_e32 v3, v10, v3
	s_delay_alu instid0(VALU_DEP_1) | instskip(NEXT) | instid1(VALU_DEP_1)
	v_add_nc_u32_e32 v3, v11, v3
	v_add_nc_u32_e32 v3, v12, v3
	s_delay_alu instid0(VALU_DEP_1)
	v_add_nc_u32_e32 v3, v13, v3
	s_and_not1_b32 exec_lo, exec_lo, s5
	s_cbranch_execnz .LBB6_19
; %bb.20:
	s_or_b32 exec_lo, exec_lo, s5
.LBB6_21:
	s_delay_alu instid0(SALU_CYCLE_1) | instskip(SKIP_3) | instid1(VALU_DEP_1)
	s_or_b32 exec_lo, exec_lo, s4
	v_and_b32_e32 v6, 7, v0
	s_mov_b32 s5, 0
	s_mov_b32 s4, exec_lo
	v_cmpx_ne_u32_e32 0, v6
	s_cbranch_execz .LBB6_25
; %bb.22:
	v_lshl_or_b32 v4, v4, 2, 0x800
.LBB6_23:                               ; =>This Inner Loop Header: Depth=1
	ds_load_b32 v7, v4
	v_add_nc_u32_e32 v6, -1, v6
	v_add_nc_u32_e32 v4, 4, v4
	s_delay_alu instid0(VALU_DEP_2)
	v_cmp_eq_u32_e32 vcc_lo, 0, v6
	s_or_b32 s5, vcc_lo, s5
	s_waitcnt lgkmcnt(0)
	v_add_nc_u32_e32 v3, v7, v3
	s_and_not1_b32 exec_lo, exec_lo, s5
	s_cbranch_execnz .LBB6_23
; %bb.24:
	s_or_b32 exec_lo, exec_lo, s5
.LBB6_25:
	s_delay_alu instid0(SALU_CYCLE_1)
	s_or_b32 exec_lo, exec_lo, s4
.LBB6_26:
	s_delay_alu instid0(SALU_CYCLE_1)
	s_or_b32 exec_lo, exec_lo, s3
	s_mul_i32 s3, s40, s17
	s_mul_hi_u32 s4, s40, s16
	s_mov_b32 s7, 0
	s_add_i32 s3, s4, s3
	s_mul_i32 s4, s41, s16
	s_mov_b32 s6, exec_lo
	s_add_i32 s5, s3, s4
	s_mul_i32 s4, s40, s16
	v_cmpx_lt_i32_e32 0, v5
	s_cbranch_execz .LBB6_29
; %bb.27:
	v_ashrrev_i32_e32 v4, 31, v3
	s_lshl_b64 s[16:17], s[4:5], 2
	s_delay_alu instid0(SALU_CYCLE_1) | instskip(SKIP_1) | instid1(VALU_DEP_1)
	s_add_u32 s3, s14, s16
	s_addc_u32 s16, s15, s17
	v_lshlrev_b64 v[6:7], 2, v[3:4]
	v_mov_b32_e32 v4, v5
	s_delay_alu instid0(VALU_DEP_2) | instskip(NEXT) | instid1(VALU_DEP_3)
	v_add_co_u32 v6, vcc_lo, s3, v6
	v_add_co_ci_u32_e32 v7, vcc_lo, s16, v7, vcc_lo
	.p2align	6
.LBB6_28:                               ; =>This Inner Loop Header: Depth=1
	global_load_b32 v8, v[1:2], off
	v_add_nc_u32_e32 v4, -1, v4
	v_add_co_u32 v1, vcc_lo, v1, 4
	v_add_co_ci_u32_e32 v2, vcc_lo, 0, v2, vcc_lo
	s_delay_alu instid0(VALU_DEP_3)
	v_cmp_eq_u32_e32 vcc_lo, 0, v4
	s_or_b32 s7, vcc_lo, s7
	s_waitcnt vmcnt(0)
	v_add_nc_u32_e32 v8, 1, v8
	global_store_b32 v[6:7], v8, off
	v_add_co_u32 v6, s3, v6, 4
	s_delay_alu instid0(VALU_DEP_1)
	v_add_co_ci_u32_e64 v7, s3, 0, v7, s3
	s_and_not1_b32 exec_lo, exec_lo, s7
	s_cbranch_execnz .LBB6_28
.LBB6_29:
	s_or_b32 exec_lo, exec_lo, s6
	v_cmp_eq_u32_e64 s3, 0xff, v0
	s_delay_alu instid0(VALU_DEP_1)
	s_and_saveexec_b32 s6, s3
	s_cbranch_execz .LBB6_31
; %bb.30:
	v_dual_mov_b32 v4, 0 :: v_dual_add_nc_u32 v1, v3, v5
	s_lshl_b64 s[16:17], s[40:41], 2
	v_mov_b32_e32 v5, s35
	s_add_u32 s8, s8, s16
	s_delay_alu instid0(VALU_DEP_2) | instskip(SKIP_2) | instid1(SALU_CYCLE_1)
	v_ashrrev_i32_e32 v2, 31, v1
	s_addc_u32 s9, s9, s17
	s_lshl_b64 s[4:5], s[4:5], 2
	s_add_u32 s4, s14, s4
	s_delay_alu instid0(VALU_DEP_1) | instskip(SKIP_2) | instid1(VALU_DEP_2)
	v_lshlrev_b64 v[2:3], 2, v[1:2]
	s_addc_u32 s5, s15, s5
	v_add_nc_u32_e32 v1, 1, v1
	v_add_co_u32 v2, vcc_lo, s4, v2
	s_delay_alu instid0(VALU_DEP_3)
	v_add_co_ci_u32_e32 v3, vcc_lo, s5, v3, vcc_lo
	global_store_b32 v[2:3], v5, off
	global_store_b32 v4, v1, s[8:9]
.LBB6_31:
	s_or_b32 exec_lo, exec_lo, s6
	v_mov_b32_e32 v1, 0
	v_bfrev_b32_e32 v6, -2
	v_dual_mov_b32 v2, 0 :: v_dual_lshlrev_b32 v5, 3, v0
	s_mov_b32 s5, exec_lo
	s_waitcnt_vscnt null, 0x0
	s_barrier
	buffer_gl0_inv
	v_cmpx_gt_i32_e64 s33, v0
	s_cbranch_execz .LBB6_35
; %bb.32:
	s_lshl_b64 s[6:7], s[44:45], 3
	v_mov_b32_e32 v1, 0
	s_add_u32 s4, s22, s6
	s_addc_u32 s6, s23, s7
	v_add_co_u32 v3, s4, s4, v5
	s_delay_alu instid0(VALU_DEP_1)
	v_add_co_ci_u32_e64 v4, null, s6, 0, s4
	v_bfrev_b32_e32 v6, -2
	v_dual_mov_b32 v2, 0 :: v_dual_mov_b32 v7, v0
	s_mov_b32 s6, 0
	.p2align	6
.LBB6_33:                               ; =>This Inner Loop Header: Depth=1
	global_load_b64 v[8:9], v[3:4], off
	v_cmp_eq_u32_e32 vcc_lo, 0x7fffffff, v6
	v_add_co_u32 v3, s4, 0x800, v3
	s_delay_alu instid0(VALU_DEP_1) | instskip(SKIP_2) | instid1(VALU_DEP_1)
	v_add_co_ci_u32_e64 v4, s4, 0, v4, s4
	s_waitcnt vmcnt(0)
	v_cmp_lt_f64_e64 s7, v[1:2], |v[8:9]|
	s_or_b32 vcc_lo, s7, vcc_lo
	v_dual_cndmask_b32 v1, v1, v8 :: v_dual_add_nc_u32 v10, 1, v7
	s_delay_alu instid0(VALU_DEP_1) | instskip(NEXT) | instid1(VALU_DEP_1)
	v_dual_cndmask_b32 v6, v6, v10 :: v_dual_and_b32 v9, 0x7fffffff, v9
	v_dual_cndmask_b32 v2, v2, v9 :: v_dual_add_nc_u32 v7, 0x100, v7
	s_delay_alu instid0(VALU_DEP_1) | instskip(NEXT) | instid1(VALU_DEP_1)
	v_cmp_le_i32_e64 s4, s33, v7
	s_or_b32 s6, s4, s6
	s_delay_alu instid0(SALU_CYCLE_1)
	s_and_not1_b32 exec_lo, exec_lo, s6
	s_cbranch_execnz .LBB6_33
; %bb.34:
	s_or_b32 exec_lo, exec_lo, s6
.LBB6_35:
	s_delay_alu instid0(SALU_CYCLE_1)
	s_or_b32 exec_lo, exec_lo, s5
	s_cmp_lt_i32 s35, 3
	ds_store_b64 v5, v[1:2]
	ds_store_b32 v19, v6
	s_waitcnt lgkmcnt(0)
	s_barrier
	buffer_gl0_inv
	s_cbranch_scc1 .LBB6_72
; %bb.36:
	s_mov_b32 s5, exec_lo
	v_cmpx_gt_u32_e32 0x80, v0
	s_cbranch_execz .LBB6_42
; %bb.37:
	ds_load_b64 v[3:4], v5 offset:1024
	ds_load_b32 v7, v19 offset:512
	s_mov_b32 s7, exec_lo
	s_waitcnt lgkmcnt(1)
	v_cmp_lt_f64_e64 s6, v[1:2], v[3:4]
	v_cmpx_nlt_f64_e32 v[1:2], v[3:4]
	s_cbranch_execz .LBB6_39
; %bb.38:
	v_cmp_eq_f64_e32 vcc_lo, v[1:2], v[3:4]
	s_waitcnt lgkmcnt(0)
	v_cmp_gt_i32_e64 s4, v6, v7
	s_delay_alu instid0(VALU_DEP_4) | instskip(NEXT) | instid1(VALU_DEP_1)
	s_and_not1_b32 s6, s6, exec_lo
	s_and_b32 s4, vcc_lo, s4
	s_delay_alu instid0(SALU_CYCLE_1) | instskip(NEXT) | instid1(SALU_CYCLE_1)
	s_and_b32 s4, s4, exec_lo
	s_or_b32 s6, s6, s4
.LBB6_39:
	s_or_b32 exec_lo, exec_lo, s7
	s_delay_alu instid0(VALU_DEP_2)
	s_and_saveexec_b32 s4, s6
	s_cbranch_execz .LBB6_41
; %bb.40:
	s_waitcnt lgkmcnt(0)
	v_mov_b32_e32 v6, v7
	v_dual_mov_b32 v1, v3 :: v_dual_mov_b32 v2, v4
	ds_store_b64 v5, v[3:4]
	ds_store_b32 v19, v7
.LBB6_41:
	s_or_b32 exec_lo, exec_lo, s4
.LBB6_42:
	s_delay_alu instid0(SALU_CYCLE_1) | instskip(NEXT) | instid1(SALU_CYCLE_1)
	s_or_b32 exec_lo, exec_lo, s5
	s_mov_b32 s5, exec_lo
	s_waitcnt lgkmcnt(0)
	s_barrier
	buffer_gl0_inv
	v_cmpx_gt_u32_e32 64, v0
	s_cbranch_execz .LBB6_48
; %bb.43:
	ds_load_b64 v[3:4], v5 offset:512
	ds_load_b32 v7, v19 offset:256
	s_mov_b32 s7, exec_lo
	s_waitcnt lgkmcnt(1)
	v_cmp_lt_f64_e64 s6, v[1:2], v[3:4]
	v_cmpx_nlt_f64_e32 v[1:2], v[3:4]
	s_cbranch_execz .LBB6_45
; %bb.44:
	v_cmp_eq_f64_e32 vcc_lo, v[1:2], v[3:4]
	s_waitcnt lgkmcnt(0)
	v_cmp_gt_i32_e64 s4, v6, v7
	s_delay_alu instid0(VALU_DEP_4) | instskip(NEXT) | instid1(VALU_DEP_1)
	s_and_not1_b32 s6, s6, exec_lo
	s_and_b32 s4, vcc_lo, s4
	s_delay_alu instid0(SALU_CYCLE_1) | instskip(NEXT) | instid1(SALU_CYCLE_1)
	s_and_b32 s4, s4, exec_lo
	s_or_b32 s6, s6, s4
.LBB6_45:
	s_or_b32 exec_lo, exec_lo, s7
	s_delay_alu instid0(VALU_DEP_2)
	s_and_saveexec_b32 s4, s6
	s_cbranch_execz .LBB6_47
; %bb.46:
	s_waitcnt lgkmcnt(0)
	v_mov_b32_e32 v6, v7
	v_dual_mov_b32 v1, v3 :: v_dual_mov_b32 v2, v4
	ds_store_b64 v5, v[3:4]
	ds_store_b32 v19, v7
.LBB6_47:
	s_or_b32 exec_lo, exec_lo, s4
.LBB6_48:
	s_delay_alu instid0(SALU_CYCLE_1) | instskip(NEXT) | instid1(SALU_CYCLE_1)
	s_or_b32 exec_lo, exec_lo, s5
	s_mov_b32 s6, exec_lo
	s_waitcnt lgkmcnt(0)
	s_barrier
	buffer_gl0_inv
	v_cmpx_gt_u32_e32 32, v0
	s_cbranch_execz .LBB6_71
; %bb.49:
	ds_load_b64 v[3:4], v5 offset:256
	ds_load_b32 v7, v19 offset:128
	s_mov_b32 s7, exec_lo
	s_waitcnt lgkmcnt(1)
	v_cmp_lt_f64_e64 s5, v[1:2], v[3:4]
	v_cmpx_nlt_f64_e32 v[1:2], v[3:4]
	s_cbranch_execz .LBB6_51
; %bb.50:
	v_cmp_eq_f64_e32 vcc_lo, v[1:2], v[3:4]
	s_waitcnt lgkmcnt(0)
	v_cmp_gt_i32_e64 s4, v6, v7
	s_delay_alu instid0(VALU_DEP_4) | instskip(NEXT) | instid1(VALU_DEP_1)
	s_and_not1_b32 s5, s5, exec_lo
	s_and_b32 s4, vcc_lo, s4
	s_delay_alu instid0(SALU_CYCLE_1) | instskip(NEXT) | instid1(SALU_CYCLE_1)
	s_and_b32 s4, s4, exec_lo
	s_or_b32 s5, s5, s4
.LBB6_51:
	s_or_b32 exec_lo, exec_lo, s7
	s_delay_alu instid0(VALU_DEP_2)
	s_and_saveexec_b32 s4, s5
	s_cbranch_execz .LBB6_53
; %bb.52:
	v_dual_mov_b32 v1, v3 :: v_dual_mov_b32 v2, v4
	s_waitcnt lgkmcnt(0)
	v_mov_b32_e32 v6, v7
	ds_store_b64 v5, v[3:4]
	ds_store_b32 v19, v7
.LBB6_53:
	s_or_b32 exec_lo, exec_lo, s4
	ds_load_b64 v[3:4], v5 offset:128
	s_waitcnt lgkmcnt(1)
	ds_load_b32 v7, v19 offset:64
	s_mov_b32 s7, exec_lo
	s_waitcnt lgkmcnt(1)
	v_cmp_lt_f64_e64 s5, v[1:2], v[3:4]
	v_cmpx_nlt_f64_e32 v[1:2], v[3:4]
	s_cbranch_execz .LBB6_55
; %bb.54:
	v_cmp_eq_f64_e32 vcc_lo, v[1:2], v[3:4]
	s_waitcnt lgkmcnt(0)
	v_cmp_gt_i32_e64 s4, v6, v7
	s_delay_alu instid0(VALU_DEP_4) | instskip(NEXT) | instid1(VALU_DEP_1)
	s_and_not1_b32 s5, s5, exec_lo
	s_and_b32 s4, vcc_lo, s4
	s_delay_alu instid0(SALU_CYCLE_1) | instskip(NEXT) | instid1(SALU_CYCLE_1)
	s_and_b32 s4, s4, exec_lo
	s_or_b32 s5, s5, s4
.LBB6_55:
	s_or_b32 exec_lo, exec_lo, s7
	s_delay_alu instid0(VALU_DEP_2)
	s_and_saveexec_b32 s4, s5
	s_cbranch_execz .LBB6_57
; %bb.56:
	v_dual_mov_b32 v1, v3 :: v_dual_mov_b32 v2, v4
	s_waitcnt lgkmcnt(0)
	v_mov_b32_e32 v6, v7
	ds_store_b64 v5, v[3:4]
	ds_store_b32 v19, v7
.LBB6_57:
	s_or_b32 exec_lo, exec_lo, s4
	ds_load_b64 v[3:4], v5 offset:64
	s_waitcnt lgkmcnt(1)
	;; [unrolled: 31-line block ×5, first 2 shown]
	ds_load_b32 v7, v19 offset:4
	s_waitcnt lgkmcnt(1)
	v_cmp_eq_f64_e32 vcc_lo, v[1:2], v[3:4]
	v_cmp_lt_f64_e64 s4, v[1:2], v[3:4]
	s_waitcnt lgkmcnt(0)
	v_cmp_gt_i32_e64 s5, v6, v7
	s_delay_alu instid0(VALU_DEP_1)
	s_and_b32 s5, vcc_lo, s5
	s_delay_alu instid0(VALU_DEP_2) | instid1(SALU_CYCLE_1)
	s_or_b32 s4, s4, s5
	s_delay_alu instid0(SALU_CYCLE_1)
	s_and_b32 exec_lo, exec_lo, s4
	s_cbranch_execz .LBB6_71
; %bb.70:
	ds_store_b64 v5, v[3:4]
	ds_store_b32 v19, v7
.LBB6_71:
	s_or_b32 exec_lo, exec_lo, s6
.LBB6_72:
	s_load_b128 s[4:7], s[0:1], 0x8
	v_mov_b32_e32 v1, 0
	s_waitcnt lgkmcnt(0)
	s_barrier
	buffer_gl0_inv
	v_dual_mov_b32 v3, s6 :: v_dual_mov_b32 v4, s7
	ds_load_b64 v[1:2], v1
	s_waitcnt lgkmcnt(0)
	v_mul_f64 v[1:2], v[1:2], s[42:43]
	s_delay_alu instid0(VALU_DEP_1) | instskip(SKIP_4) | instid1(VALU_DEP_3)
	v_cmp_gt_f64_e32 vcc_lo, s[42:43], v[1:2]
	v_readfirstlane_b32 s8, v2
	v_readfirstlane_b32 s14, v1
	v_dual_mov_b32 v1, s4 :: v_dual_mov_b32 v2, s5
	s_and_b32 s9, vcc_lo, exec_lo
	s_cselect_b32 s9, s43, s8
	s_delay_alu instid0(VALU_DEP_2)
	s_cselect_b32 s8, s42, s14
	s_cmpk_lg_i32 s34, 0xe9
	s_cbranch_scc0 .LBB6_75
; %bb.73:
	s_and_saveexec_b32 s0, s2
	s_cbranch_execnz .LBB6_126
.LBB6_74:
	s_nop 0
	s_sendmsg sendmsg(MSG_DEALLOC_VGPRS)
	s_endpgm
.LBB6_75:
	s_lshl_b64 s[38:39], s[48:49], 3
	v_dual_mov_b32 v3, s6 :: v_dual_mov_b32 v4, s7
	s_add_u32 s14, s36, s38
	s_addc_u32 s15, s37, s39
	s_lshl_b64 s[42:43], s[46:47], 3
	v_dual_mov_b32 v1, s4 :: v_dual_mov_b32 v2, s5
	s_add_u32 s46, s14, s42
	s_addc_u32 s47, s15, s43
	s_lshl_b64 s[14:15], s[44:45], 3
	s_delay_alu instid0(SALU_CYCLE_1) | instskip(SKIP_2) | instid1(SALU_CYCLE_1)
	s_add_u32 s18, s22, s14
	s_addc_u32 s19, s23, s15
	s_lshl_b64 s[12:13], s[12:13], 3
	s_add_u32 s22, s10, s12
	s_addc_u32 s23, s11, s13
	s_lshl_b32 s10, s35, 1
	s_delay_alu instid0(SALU_CYCLE_1) | instskip(NEXT) | instid1(SALU_CYCLE_1)
	s_mul_i32 s12, s10, s40
	s_ashr_i32 s13, s12, 31
	s_delay_alu instid0(SALU_CYCLE_1) | instskip(NEXT) | instid1(SALU_CYCLE_1)
	s_lshl_b64 s[16:17], s[12:13], 3
	s_add_u32 s6, s26, s16
	s_addc_u32 s7, s27, s17
	s_lshl_b64 s[12:13], s[12:13], 2
	s_delay_alu instid0(SALU_CYCLE_1)
	s_add_u32 s14, s28, s12
	s_addc_u32 s15, s29, s13
	s_and_saveexec_b32 s5, s2
	s_cbranch_execz .LBB6_83
; %bb.76:
	v_mov_b32_e32 v10, 0
	s_cmp_gt_i32 s35, 1
	s_clause 0x1
	global_load_b64 v[6:7], v10, s[46:47]
	global_load_b64 v[3:4], v10, s[22:23]
	s_cselect_b32 s11, -1, 0
	s_cmp_lt_i32 s35, 2
	s_waitcnt vmcnt(0)
	v_add_f64 v[1:2], v[6:7], -|v[3:4]|
	v_and_b32_e32 v4, 0x7fffffff, v4
	s_delay_alu instid0(VALU_DEP_2) | instskip(NEXT) | instid1(VALU_DEP_1)
	v_add_f64 v[8:9], v[6:7], -v[1:2]
	v_cmp_ge_f64_e32 vcc_lo, s[8:9], v[8:9]
	v_cndmask_b32_e64 v5, 0, 1, vcc_lo
	s_cbranch_scc1 .LBB6_79
; %bb.77:
	v_cmp_gt_f64_e64 s4, v[8:9], -s[8:9]
	s_xor_b32 s50, s9, 0x80000000
	s_mov_b64 s[44:45], s[18:19]
	s_mov_b32 s51, s33
	s_delay_alu instid0(VALU_DEP_1)
	s_and_b32 s4, vcc_lo, s4
	s_add_u32 s48, s38, s42
	v_cndmask_b32_e64 v9, v9, s50, s4
	v_cndmask_b32_e64 v8, v8, s8, s4
	s_addc_u32 s4, s39, s43
	s_add_u32 s48, s48, s36
	s_addc_u32 s4, s4, s37
	s_add_u32 s48, s48, 8
	s_addc_u32 s49, s4, 0
	s_set_inst_prefetch_distance 0x1
	.p2align	6
.LBB6_78:                               ; =>This Inner Loop Header: Depth=1
	s_clause 0x1
	global_load_b64 v[11:12], v10, s[44:45]
	global_load_b64 v[13:14], v10, s[48:49]
	s_add_i32 s51, s51, -1
	s_waitcnt vmcnt(1)
	v_div_scale_f64 v[15:16], null, v[8:9], v[8:9], v[11:12]
	v_div_scale_f64 v[21:22], vcc_lo, v[11:12], v[8:9], v[11:12]
	s_waitcnt vmcnt(0)
	v_add_f64 v[13:14], v[13:14], -v[1:2]
	s_delay_alu instid0(VALU_DEP_3) | instskip(SKIP_2) | instid1(VALU_DEP_1)
	v_rcp_f64_e32 v[17:18], v[15:16]
	s_waitcnt_depctr 0xfff
	v_fma_f64 v[19:20], -v[15:16], v[17:18], 1.0
	v_fma_f64 v[17:18], v[17:18], v[19:20], v[17:18]
	s_delay_alu instid0(VALU_DEP_1) | instskip(NEXT) | instid1(VALU_DEP_1)
	v_fma_f64 v[19:20], -v[15:16], v[17:18], 1.0
	v_fma_f64 v[17:18], v[17:18], v[19:20], v[17:18]
	s_delay_alu instid0(VALU_DEP_1) | instskip(NEXT) | instid1(VALU_DEP_1)
	v_mul_f64 v[19:20], v[21:22], v[17:18]
	v_fma_f64 v[15:16], -v[15:16], v[19:20], v[21:22]
	s_delay_alu instid0(VALU_DEP_1) | instskip(NEXT) | instid1(VALU_DEP_1)
	v_div_fmas_f64 v[15:16], v[15:16], v[17:18], v[19:20]
	v_div_fixup_f64 v[8:9], v[15:16], v[8:9], v[11:12]
	s_delay_alu instid0(VALU_DEP_1) | instskip(NEXT) | instid1(VALU_DEP_1)
	v_add_f64 v[8:9], v[13:14], -v[8:9]
	v_cmp_ge_f64_e32 vcc_lo, s[8:9], v[8:9]
	v_cmp_gt_f64_e64 s52, v[8:9], -s[8:9]
	v_add_co_ci_u32_e64 v5, s4, 0, v5, vcc_lo
	s_delay_alu instid0(VALU_DEP_2)
	s_and_b32 s4, vcc_lo, s52
	s_add_u32 s44, s44, 8
	v_cndmask_b32_e64 v9, v9, s50, s4
	v_cndmask_b32_e64 v8, v8, s8, s4
	s_addc_u32 s45, s45, 0
	s_add_u32 s48, s48, 8
	s_addc_u32 s49, s49, 0
	s_cmp_lg_u32 s51, 0
	s_cbranch_scc1 .LBB6_78
.LBB6_79:
	s_set_inst_prefetch_distance 0x2
	v_add_f64 v[3:4], v[6:7], v[3:4]
	s_and_not1_b32 vcc_lo, exec_lo, s11
	s_delay_alu instid0(VALU_DEP_1) | instskip(NEXT) | instid1(VALU_DEP_1)
	v_add_f64 v[7:8], v[6:7], -v[3:4]
	v_cmp_ge_f64_e64 s4, s[8:9], v[7:8]
	s_delay_alu instid0(VALU_DEP_1)
	v_cndmask_b32_e64 v6, 0, 1, s4
	s_cbranch_vccnz .LBB6_82
; %bb.80:
	v_cmp_gt_f64_e64 s48, v[7:8], -s[8:9]
	s_xor_b32 s11, s9, 0x80000000
	v_mov_b32_e32 v9, 0
	s_mov_b64 s[44:45], s[18:19]
	s_mov_b32 s50, s33
	s_delay_alu instid0(VALU_DEP_2)
	s_and_b32 s4, s4, s48
	s_add_u32 s48, s38, s42
	v_cndmask_b32_e64 v8, v8, s11, s4
	v_cndmask_b32_e64 v7, v7, s8, s4
	s_addc_u32 s4, s39, s43
	s_add_u32 s48, s48, s36
	s_addc_u32 s4, s4, s37
	s_add_u32 s48, s48, 8
	s_addc_u32 s49, s4, 0
	s_set_inst_prefetch_distance 0x1
	.p2align	6
.LBB6_81:                               ; =>This Inner Loop Header: Depth=1
	s_clause 0x1
	global_load_b64 v[10:11], v9, s[44:45]
	global_load_b64 v[12:13], v9, s[48:49]
	s_add_i32 s50, s50, -1
	s_waitcnt vmcnt(1)
	v_div_scale_f64 v[14:15], null, v[7:8], v[7:8], v[10:11]
	v_div_scale_f64 v[20:21], vcc_lo, v[10:11], v[7:8], v[10:11]
	s_waitcnt vmcnt(0)
	v_add_f64 v[12:13], v[12:13], -v[3:4]
	s_delay_alu instid0(VALU_DEP_3) | instskip(SKIP_2) | instid1(VALU_DEP_1)
	v_rcp_f64_e32 v[16:17], v[14:15]
	s_waitcnt_depctr 0xfff
	v_fma_f64 v[18:19], -v[14:15], v[16:17], 1.0
	v_fma_f64 v[16:17], v[16:17], v[18:19], v[16:17]
	s_delay_alu instid0(VALU_DEP_1) | instskip(NEXT) | instid1(VALU_DEP_1)
	v_fma_f64 v[18:19], -v[14:15], v[16:17], 1.0
	v_fma_f64 v[16:17], v[16:17], v[18:19], v[16:17]
	s_delay_alu instid0(VALU_DEP_1) | instskip(NEXT) | instid1(VALU_DEP_1)
	v_mul_f64 v[18:19], v[20:21], v[16:17]
	v_fma_f64 v[14:15], -v[14:15], v[18:19], v[20:21]
	s_delay_alu instid0(VALU_DEP_1) | instskip(NEXT) | instid1(VALU_DEP_1)
	v_div_fmas_f64 v[14:15], v[14:15], v[16:17], v[18:19]
	v_div_fixup_f64 v[7:8], v[14:15], v[7:8], v[10:11]
	s_delay_alu instid0(VALU_DEP_1) | instskip(NEXT) | instid1(VALU_DEP_1)
	v_add_f64 v[7:8], v[12:13], -v[7:8]
	v_cmp_ge_f64_e32 vcc_lo, s[8:9], v[7:8]
	v_cmp_gt_f64_e64 s51, v[7:8], -s[8:9]
	v_add_co_ci_u32_e64 v6, s4, 0, v6, vcc_lo
	s_delay_alu instid0(VALU_DEP_2)
	s_and_b32 s4, vcc_lo, s51
	s_add_u32 s44, s44, 8
	v_cndmask_b32_e64 v8, v8, s11, s4
	v_cndmask_b32_e64 v7, v7, s8, s4
	s_addc_u32 s45, s45, 0
	s_add_u32 s48, s48, 8
	s_addc_u32 s49, s49, 0
	s_cmp_lg_u32 s50, 0
	s_cbranch_scc1 .LBB6_81
.LBB6_82:
	s_set_inst_prefetch_distance 0x2
	v_mov_b32_e32 v7, 0
	s_clause 0x1
	global_store_b128 v7, v[1:4], s[6:7]
	global_store_b64 v7, v[5:6], s[14:15]
.LBB6_83:
	s_or_b32 exec_lo, exec_lo, s5
	v_add_nc_u32_e32 v5, 1, v0
	s_mov_b32 s5, exec_lo
	s_delay_alu instid0(VALU_DEP_1)
	v_cmpx_gt_i32_e64 s33, v5
	s_cbranch_execz .LBB6_93
; %bb.84:
	s_cmp_gt_i32 s35, 1
	v_mov_b32_e32 v6, 0
	s_cselect_b32 s11, -1, 0
	s_add_u32 s4, s38, s42
	s_addc_u32 s44, s39, s43
	s_add_u32 s4, s4, s36
	s_addc_u32 s45, s44, s37
	;; [unrolled: 2-line block ×3, first 2 shown]
	s_mov_b32 s52, 0
	s_xor_b32 s53, s9, 0x80000000
	s_branch .LBB6_86
.LBB6_85:                               ;   in Loop: Header=BB6_86 Depth=1
	s_set_inst_prefetch_distance 0x2
	v_dual_mov_b32 v10, v6 :: v_dual_lshlrev_b32 v9, 1, v5
	v_add_nc_u32_e32 v5, 0x100, v5
	s_delay_alu instid0(VALU_DEP_2) | instskip(SKIP_1) | instid1(VALU_DEP_3)
	v_lshlrev_b64 v[11:12], 3, v[9:10]
	v_lshlrev_b64 v[9:10], 2, v[9:10]
	v_cmp_le_i32_e32 vcc_lo, s33, v5
	s_delay_alu instid0(VALU_DEP_3) | instskip(NEXT) | instid1(VALU_DEP_1)
	v_add_co_u32 v11, s4, s6, v11
	v_add_co_ci_u32_e64 v12, s4, s7, v12, s4
	s_delay_alu instid0(VALU_DEP_4) | instskip(NEXT) | instid1(VALU_DEP_1)
	v_add_co_u32 v9, s4, s14, v9
	v_add_co_ci_u32_e64 v10, s4, s15, v10, s4
	s_or_b32 s52, vcc_lo, s52
	global_store_b128 v[11:12], v[1:4], off
	global_store_b64 v[9:10], v[7:8], off
	s_and_not1_b32 exec_lo, exec_lo, s52
	s_cbranch_execz .LBB6_92
.LBB6_86:                               ; =>This Loop Header: Depth=1
                                        ;     Child Loop BB6_88 Depth 2
                                        ;     Child Loop BB6_91 Depth 2
	v_lshlrev_b64 v[0:1], 3, v[5:6]
	s_delay_alu instid0(VALU_DEP_1) | instskip(NEXT) | instid1(VALU_DEP_2)
	v_add_co_u32 v2, vcc_lo, s22, v0
	v_add_co_ci_u32_e32 v3, vcc_lo, s23, v1, vcc_lo
	v_add_co_u32 v0, vcc_lo, s46, v0
	v_add_co_ci_u32_e32 v1, vcc_lo, s47, v1, vcc_lo
	global_load_b128 v[10:13], v[2:3], off offset:-8
	s_and_not1_b32 vcc_lo, exec_lo, s11
	s_clause 0x1
	global_load_b64 v[3:4], v[0:1], off
	global_load_b64 v[8:9], v6, s[46:47]
	s_waitcnt vmcnt(2)
	v_add_f64 v[10:11], |v[12:13]|, |v[10:11]|
	s_waitcnt vmcnt(1)
	s_delay_alu instid0(VALU_DEP_1) | instskip(SKIP_1) | instid1(VALU_DEP_1)
	v_add_f64 v[1:2], v[3:4], -v[10:11]
	s_waitcnt vmcnt(0)
	v_add_f64 v[12:13], v[8:9], -v[1:2]
	s_delay_alu instid0(VALU_DEP_1) | instskip(NEXT) | instid1(VALU_DEP_1)
	v_cmp_ge_f64_e64 s4, s[8:9], v[12:13]
	v_cndmask_b32_e64 v7, 0, 1, s4
	s_cbranch_vccnz .LBB6_89
; %bb.87:                               ;   in Loop: Header=BB6_86 Depth=1
	v_cmp_gt_f64_e64 s48, v[12:13], -s[8:9]
	s_mov_b64 s[50:51], s[18:19]
	s_mov_b32 s54, s33
	s_delay_alu instid0(VALU_DEP_1)
	s_and_b32 s4, s4, s48
	s_mov_b64 s[48:49], s[44:45]
	v_cndmask_b32_e64 v13, v13, s53, s4
	v_cndmask_b32_e64 v12, v12, s8, s4
	s_set_inst_prefetch_distance 0x1
	.p2align	6
.LBB6_88:                               ;   Parent Loop BB6_86 Depth=1
                                        ; =>  This Inner Loop Header: Depth=2
	s_clause 0x1
	global_load_b64 v[14:15], v6, s[50:51]
	global_load_b64 v[16:17], v6, s[48:49]
	s_add_i32 s54, s54, -1
	s_waitcnt vmcnt(1)
	v_div_scale_f64 v[18:19], null, v[12:13], v[12:13], v[14:15]
	v_div_scale_f64 v[24:25], vcc_lo, v[14:15], v[12:13], v[14:15]
	s_waitcnt vmcnt(0)
	v_add_f64 v[16:17], v[16:17], -v[1:2]
	s_delay_alu instid0(VALU_DEP_3) | instskip(SKIP_2) | instid1(VALU_DEP_1)
	v_rcp_f64_e32 v[20:21], v[18:19]
	s_waitcnt_depctr 0xfff
	v_fma_f64 v[22:23], -v[18:19], v[20:21], 1.0
	v_fma_f64 v[20:21], v[20:21], v[22:23], v[20:21]
	s_delay_alu instid0(VALU_DEP_1) | instskip(NEXT) | instid1(VALU_DEP_1)
	v_fma_f64 v[22:23], -v[18:19], v[20:21], 1.0
	v_fma_f64 v[20:21], v[20:21], v[22:23], v[20:21]
	s_delay_alu instid0(VALU_DEP_1) | instskip(NEXT) | instid1(VALU_DEP_1)
	v_mul_f64 v[22:23], v[24:25], v[20:21]
	v_fma_f64 v[18:19], -v[18:19], v[22:23], v[24:25]
	s_delay_alu instid0(VALU_DEP_1) | instskip(NEXT) | instid1(VALU_DEP_1)
	v_div_fmas_f64 v[18:19], v[18:19], v[20:21], v[22:23]
	v_div_fixup_f64 v[12:13], v[18:19], v[12:13], v[14:15]
	s_delay_alu instid0(VALU_DEP_1) | instskip(NEXT) | instid1(VALU_DEP_1)
	v_add_f64 v[12:13], v[16:17], -v[12:13]
	v_cmp_ge_f64_e32 vcc_lo, s[8:9], v[12:13]
	v_cmp_gt_f64_e64 s55, v[12:13], -s[8:9]
	v_add_co_ci_u32_e64 v7, s4, 0, v7, vcc_lo
	s_delay_alu instid0(VALU_DEP_2)
	s_and_b32 s4, vcc_lo, s55
	s_add_u32 s50, s50, 8
	v_cndmask_b32_e64 v13, v13, s53, s4
	v_cndmask_b32_e64 v12, v12, s8, s4
	s_addc_u32 s51, s51, 0
	s_add_u32 s48, s48, 8
	s_addc_u32 s49, s49, 0
	s_cmp_lg_u32 s54, 0
	s_cbranch_scc1 .LBB6_88
.LBB6_89:                               ;   in Loop: Header=BB6_86 Depth=1
	s_set_inst_prefetch_distance 0x2
	v_add_f64 v[3:4], v[3:4], v[10:11]
	s_and_not1_b32 vcc_lo, exec_lo, s11
	s_delay_alu instid0(VALU_DEP_1) | instskip(NEXT) | instid1(VALU_DEP_1)
	v_add_f64 v[9:10], v[8:9], -v[3:4]
	v_cmp_ge_f64_e64 s4, s[8:9], v[9:10]
	s_delay_alu instid0(VALU_DEP_1)
	v_cndmask_b32_e64 v8, 0, 1, s4
	s_cbranch_vccnz .LBB6_85
; %bb.90:                               ;   in Loop: Header=BB6_86 Depth=1
	v_cmp_gt_f64_e64 s48, v[9:10], -s[8:9]
	s_mov_b64 s[50:51], s[18:19]
	s_mov_b32 s54, s33
	s_delay_alu instid0(VALU_DEP_1)
	s_and_b32 s4, s4, s48
	s_mov_b64 s[48:49], s[44:45]
	v_cndmask_b32_e64 v10, v10, s53, s4
	v_cndmask_b32_e64 v9, v9, s8, s4
	s_set_inst_prefetch_distance 0x1
	.p2align	6
.LBB6_91:                               ;   Parent Loop BB6_86 Depth=1
                                        ; =>  This Inner Loop Header: Depth=2
	s_clause 0x1
	global_load_b64 v[11:12], v6, s[50:51]
	global_load_b64 v[13:14], v6, s[48:49]
	s_add_i32 s54, s54, -1
	s_waitcnt vmcnt(1)
	v_div_scale_f64 v[15:16], null, v[9:10], v[9:10], v[11:12]
	v_div_scale_f64 v[21:22], vcc_lo, v[11:12], v[9:10], v[11:12]
	s_waitcnt vmcnt(0)
	v_add_f64 v[13:14], v[13:14], -v[3:4]
	s_delay_alu instid0(VALU_DEP_3) | instskip(SKIP_2) | instid1(VALU_DEP_1)
	v_rcp_f64_e32 v[17:18], v[15:16]
	s_waitcnt_depctr 0xfff
	v_fma_f64 v[19:20], -v[15:16], v[17:18], 1.0
	v_fma_f64 v[17:18], v[17:18], v[19:20], v[17:18]
	s_delay_alu instid0(VALU_DEP_1) | instskip(NEXT) | instid1(VALU_DEP_1)
	v_fma_f64 v[19:20], -v[15:16], v[17:18], 1.0
	v_fma_f64 v[17:18], v[17:18], v[19:20], v[17:18]
	s_delay_alu instid0(VALU_DEP_1) | instskip(NEXT) | instid1(VALU_DEP_1)
	v_mul_f64 v[19:20], v[21:22], v[17:18]
	v_fma_f64 v[15:16], -v[15:16], v[19:20], v[21:22]
	s_delay_alu instid0(VALU_DEP_1) | instskip(NEXT) | instid1(VALU_DEP_1)
	v_div_fmas_f64 v[15:16], v[15:16], v[17:18], v[19:20]
	v_div_fixup_f64 v[9:10], v[15:16], v[9:10], v[11:12]
	s_delay_alu instid0(VALU_DEP_1) | instskip(NEXT) | instid1(VALU_DEP_1)
	v_add_f64 v[9:10], v[13:14], -v[9:10]
	v_cmp_ge_f64_e32 vcc_lo, s[8:9], v[9:10]
	v_cmp_gt_f64_e64 s55, v[9:10], -s[8:9]
	v_add_co_ci_u32_e64 v8, s4, 0, v8, vcc_lo
	s_delay_alu instid0(VALU_DEP_2)
	s_and_b32 s4, vcc_lo, s55
	s_add_u32 s50, s50, 8
	v_cndmask_b32_e64 v10, v10, s53, s4
	v_cndmask_b32_e64 v9, v9, s8, s4
	s_addc_u32 s51, s51, 0
	s_add_u32 s48, s48, 8
	s_addc_u32 s49, s49, 0
	s_cmp_lg_u32 s54, 0
	s_cbranch_scc1 .LBB6_91
	s_branch .LBB6_85
.LBB6_92:
	s_or_b32 exec_lo, exec_lo, s52
.LBB6_93:
	s_delay_alu instid0(SALU_CYCLE_1)
	s_or_b32 exec_lo, exec_lo, s5
	s_and_saveexec_b32 s44, s3
	s_cbranch_execz .LBB6_101
; %bb.94:
	s_ashr_i32 s5, s35, 31
	s_mov_b32 s4, s35
	v_mov_b32_e32 v0, 0
	s_lshl_b64 s[4:5], s[4:5], 3
	s_delay_alu instid0(SALU_CYCLE_1)
	s_add_u32 s48, s46, s4
	s_addc_u32 s49, s47, s5
	s_add_u32 s4, s22, s4
	s_addc_u32 s5, s23, s5
	s_clause 0x2
	global_load_b64 v[3:4], v0, s[4:5] offset:-16
	global_load_b64 v[6:7], v0, s[48:49] offset:-8
	global_load_b64 v[8:9], v0, s[46:47]
	s_cmp_gt_i32 s35, 1
	s_cselect_b32 s11, -1, 0
	s_cmp_lt_i32 s35, 2
	s_waitcnt vmcnt(1)
	v_add_f64 v[1:2], v[6:7], -|v[3:4]|
	v_and_b32_e32 v4, 0x7fffffff, v4
	s_waitcnt vmcnt(0)
	s_delay_alu instid0(VALU_DEP_2) | instskip(NEXT) | instid1(VALU_DEP_1)
	v_add_f64 v[10:11], v[8:9], -v[1:2]
	v_cmp_ge_f64_e32 vcc_lo, s[8:9], v[10:11]
	v_cndmask_b32_e64 v5, 0, 1, vcc_lo
	s_cbranch_scc1 .LBB6_97
; %bb.95:
	v_cmp_gt_f64_e64 s3, v[10:11], -s[8:9]
	s_xor_b32 s45, s9, 0x80000000
	s_mov_b64 s[4:5], s[18:19]
	s_mov_b32 s46, s33
	s_delay_alu instid0(VALU_DEP_1)
	s_and_b32 s3, vcc_lo, s3
	s_add_u32 s22, s38, s42
	v_cndmask_b32_e64 v11, v11, s45, s3
	v_cndmask_b32_e64 v10, v10, s8, s3
	s_addc_u32 s3, s39, s43
	s_add_u32 s22, s22, s36
	s_addc_u32 s3, s3, s37
	s_add_u32 s22, s22, 8
	s_addc_u32 s23, s3, 0
	s_set_inst_prefetch_distance 0x1
	.p2align	6
.LBB6_96:                               ; =>This Inner Loop Header: Depth=1
	s_clause 0x1
	global_load_b64 v[12:13], v0, s[4:5]
	global_load_b64 v[14:15], v0, s[22:23]
	s_add_i32 s46, s46, -1
	s_waitcnt vmcnt(1)
	v_div_scale_f64 v[16:17], null, v[10:11], v[10:11], v[12:13]
	v_div_scale_f64 v[22:23], vcc_lo, v[12:13], v[10:11], v[12:13]
	s_waitcnt vmcnt(0)
	v_add_f64 v[14:15], v[14:15], -v[1:2]
	s_delay_alu instid0(VALU_DEP_3) | instskip(SKIP_2) | instid1(VALU_DEP_1)
	v_rcp_f64_e32 v[18:19], v[16:17]
	s_waitcnt_depctr 0xfff
	v_fma_f64 v[20:21], -v[16:17], v[18:19], 1.0
	v_fma_f64 v[18:19], v[18:19], v[20:21], v[18:19]
	s_delay_alu instid0(VALU_DEP_1) | instskip(NEXT) | instid1(VALU_DEP_1)
	v_fma_f64 v[20:21], -v[16:17], v[18:19], 1.0
	v_fma_f64 v[18:19], v[18:19], v[20:21], v[18:19]
	s_delay_alu instid0(VALU_DEP_1) | instskip(NEXT) | instid1(VALU_DEP_1)
	v_mul_f64 v[20:21], v[22:23], v[18:19]
	v_fma_f64 v[16:17], -v[16:17], v[20:21], v[22:23]
	s_delay_alu instid0(VALU_DEP_1) | instskip(NEXT) | instid1(VALU_DEP_1)
	v_div_fmas_f64 v[16:17], v[16:17], v[18:19], v[20:21]
	v_div_fixup_f64 v[10:11], v[16:17], v[10:11], v[12:13]
	s_delay_alu instid0(VALU_DEP_1) | instskip(NEXT) | instid1(VALU_DEP_1)
	v_add_f64 v[10:11], v[14:15], -v[10:11]
	v_cmp_ge_f64_e32 vcc_lo, s[8:9], v[10:11]
	v_cmp_gt_f64_e64 s47, v[10:11], -s[8:9]
	v_add_co_ci_u32_e64 v5, s3, 0, v5, vcc_lo
	s_delay_alu instid0(VALU_DEP_2)
	s_and_b32 s3, vcc_lo, s47
	s_add_u32 s4, s4, 8
	v_cndmask_b32_e64 v11, v11, s45, s3
	v_cndmask_b32_e64 v10, v10, s8, s3
	s_addc_u32 s5, s5, 0
	s_add_u32 s22, s22, 8
	s_addc_u32 s23, s23, 0
	s_cmp_lg_u32 s46, 0
	s_cbranch_scc1 .LBB6_96
.LBB6_97:
	s_set_inst_prefetch_distance 0x2
	v_add_f64 v[3:4], v[6:7], v[3:4]
	s_and_not1_b32 vcc_lo, exec_lo, s11
	s_delay_alu instid0(VALU_DEP_1) | instskip(NEXT) | instid1(VALU_DEP_1)
	v_add_f64 v[7:8], v[8:9], -v[3:4]
	v_cmp_ge_f64_e64 s3, s[8:9], v[7:8]
	s_delay_alu instid0(VALU_DEP_1)
	v_cndmask_b32_e64 v6, 0, 1, s3
	s_cbranch_vccnz .LBB6_100
; %bb.98:
	v_cmp_gt_f64_e64 s4, v[7:8], -s[8:9]
	s_xor_b32 s11, s9, 0x80000000
	v_mov_b32_e32 v0, 0
	s_delay_alu instid0(VALU_DEP_2)
	s_and_b32 s3, s3, s4
	s_add_u32 s4, s38, s42
	v_cndmask_b32_e64 v8, v8, s11, s3
	v_cndmask_b32_e64 v7, v7, s8, s3
	s_addc_u32 s3, s39, s43
	s_add_u32 s4, s4, s36
	s_addc_u32 s3, s3, s37
	s_add_u32 s4, s4, 8
	s_addc_u32 s5, s3, 0
	s_set_inst_prefetch_distance 0x1
	.p2align	6
.LBB6_99:                               ; =>This Inner Loop Header: Depth=1
	s_clause 0x1
	global_load_b64 v[9:10], v0, s[18:19]
	global_load_b64 v[11:12], v0, s[4:5]
	s_add_i32 s33, s33, -1
	s_waitcnt vmcnt(1)
	v_div_scale_f64 v[13:14], null, v[7:8], v[7:8], v[9:10]
	v_div_scale_f64 v[19:20], vcc_lo, v[9:10], v[7:8], v[9:10]
	s_waitcnt vmcnt(0)
	v_add_f64 v[11:12], v[11:12], -v[3:4]
	s_delay_alu instid0(VALU_DEP_3) | instskip(SKIP_2) | instid1(VALU_DEP_1)
	v_rcp_f64_e32 v[15:16], v[13:14]
	s_waitcnt_depctr 0xfff
	v_fma_f64 v[17:18], -v[13:14], v[15:16], 1.0
	v_fma_f64 v[15:16], v[15:16], v[17:18], v[15:16]
	s_delay_alu instid0(VALU_DEP_1) | instskip(NEXT) | instid1(VALU_DEP_1)
	v_fma_f64 v[17:18], -v[13:14], v[15:16], 1.0
	v_fma_f64 v[15:16], v[15:16], v[17:18], v[15:16]
	s_delay_alu instid0(VALU_DEP_1) | instskip(NEXT) | instid1(VALU_DEP_1)
	v_mul_f64 v[17:18], v[19:20], v[15:16]
	v_fma_f64 v[13:14], -v[13:14], v[17:18], v[19:20]
	s_delay_alu instid0(VALU_DEP_1) | instskip(NEXT) | instid1(VALU_DEP_1)
	v_div_fmas_f64 v[13:14], v[13:14], v[15:16], v[17:18]
	v_div_fixup_f64 v[7:8], v[13:14], v[7:8], v[9:10]
	s_delay_alu instid0(VALU_DEP_1) | instskip(NEXT) | instid1(VALU_DEP_1)
	v_add_f64 v[7:8], v[11:12], -v[7:8]
	v_cmp_ge_f64_e32 vcc_lo, s[8:9], v[7:8]
	v_cmp_gt_f64_e64 s22, v[7:8], -s[8:9]
	v_add_co_ci_u32_e64 v6, s3, 0, v6, vcc_lo
	s_delay_alu instid0(VALU_DEP_2)
	s_and_b32 s3, vcc_lo, s22
	s_add_u32 s18, s18, 8
	v_cndmask_b32_e64 v8, v8, s11, s3
	v_cndmask_b32_e64 v7, v7, s8, s3
	s_addc_u32 s19, s19, 0
	s_add_u32 s4, s4, 8
	s_addc_u32 s5, s5, 0
	s_cmp_lg_u32 s33, 0
	s_cbranch_scc1 .LBB6_99
.LBB6_100:
	s_set_inst_prefetch_distance 0x2
	s_ashr_i32 s11, s10, 31
	v_mov_b32_e32 v0, 0
	s_lshl_b64 s[4:5], s[10:11], 3
	s_delay_alu instid0(SALU_CYCLE_1) | instskip(SKIP_2) | instid1(SALU_CYCLE_1)
	s_add_u32 s4, s6, s4
	s_addc_u32 s5, s7, s5
	s_lshl_b64 s[18:19], s[10:11], 2
	s_add_u32 s18, s14, s18
	s_addc_u32 s19, s15, s19
	s_clause 0x1
	global_store_b128 v0, v[1:4], s[4:5] offset:-16
	global_store_b64 v0, v[5:6], s[18:19] offset:-8
.LBB6_101:
	s_or_b32 exec_lo, exec_lo, s44
	s_waitcnt_vscnt null, 0x0
	s_barrier
	buffer_gl0_inv
	s_and_saveexec_b32 s3, s2
	s_cbranch_execz .LBB6_125
; %bb.102:
	s_cmp_gt_i32 s35, 0
	s_mov_b32 s4, 1
	s_cselect_b32 s33, -1, 0
	s_cmp_lt_i32 s35, 1
	s_cbranch_scc1 .LBB6_110
; %bb.103:
	s_cmp_lg_u64 s[28:29], 0
	v_mov_b32_e32 v4, 0
	s_cselect_b32 s11, -1, 0
	s_add_u32 s36, s6, -8
	s_addc_u32 s37, s7, -1
	s_add_u32 s38, s14, -4
	s_addc_u32 s39, s15, -1
	s_add_u32 s5, s16, s26
	s_addc_u32 s17, s17, s27
	s_add_u32 s16, s5, 8
	s_addc_u32 s17, s17, 0
	s_branch .LBB6_105
.LBB6_104:                              ;   in Loop: Header=BB6_105 Depth=1
	s_add_i32 s4, s4, 1
	s_add_u32 s16, s16, 8
	s_addc_u32 s17, s17, 0
	s_cmp_lg_u32 s4, s10
	s_cbranch_scc0 .LBB6_110
.LBB6_105:                              ; =>This Loop Header: Depth=1
                                        ;     Child Loop BB6_106 Depth 2
	s_ashr_i32 s5, s4, 31
	s_add_i32 s23, s4, -1
	s_lshl_b64 s[18:19], s[4:5], 3
	s_mov_b64 s[26:27], s[16:17]
	s_add_u32 s18, s36, s18
	s_addc_u32 s19, s37, s19
	s_mov_b32 s42, s4
	global_load_b64 v[0:1], v4, s[18:19]
	s_mov_b32 s22, s23
	s_waitcnt vmcnt(0)
	v_dual_mov_b32 v3, v1 :: v_dual_mov_b32 v2, v0
.LBB6_106:                              ;   Parent Loop BB6_105 Depth=1
                                        ; =>  This Inner Loop Header: Depth=2
	global_load_b64 v[5:6], v4, s[26:27]
	s_waitcnt vmcnt(0)
	v_cmp_lt_f64_e32 vcc_lo, v[5:6], v[2:3]
	s_and_b32 s43, vcc_lo, exec_lo
	v_dual_cndmask_b32 v3, v3, v6 :: v_dual_cndmask_b32 v2, v2, v5
	s_cselect_b32 s22, s42, s22
	s_add_i32 s42, s42, 1
	s_add_u32 s26, s26, 8
	s_addc_u32 s27, s27, 0
	s_cmp_ge_i32 s42, s10
	s_cbranch_scc0 .LBB6_106
; %bb.107:                              ;   in Loop: Header=BB6_105 Depth=1
	s_cmp_lg_u32 s22, s23
	s_cbranch_scc0 .LBB6_104
; %bb.108:                              ;   in Loop: Header=BB6_105 Depth=1
	s_ashr_i32 s23, s22, 31
	s_delay_alu instid0(SALU_CYCLE_1) | instskip(NEXT) | instid1(SALU_CYCLE_1)
	s_lshl_b64 s[26:27], s[22:23], 3
	s_add_u32 s26, s6, s26
	s_addc_u32 s27, s7, s27
	s_and_not1_b32 vcc_lo, exec_lo, s11
	s_clause 0x1
	global_store_b64 v4, v[0:1], s[26:27]
	global_store_b64 v4, v[2:3], s[18:19]
	s_cbranch_vccnz .LBB6_104
; %bb.109:                              ;   in Loop: Header=BB6_105 Depth=1
	s_lshl_b64 s[18:19], s[4:5], 2
	s_delay_alu instid0(SALU_CYCLE_1) | instskip(SKIP_2) | instid1(SALU_CYCLE_1)
	s_add_u32 s18, s38, s18
	s_addc_u32 s19, s39, s19
	s_lshl_b64 s[22:23], s[22:23], 2
	s_add_u32 s22, s14, s22
	s_addc_u32 s23, s15, s23
	s_clause 0x1
	global_load_b32 v0, v4, s[18:19]
	global_load_b32 v1, v4, s[22:23]
	s_waitcnt vmcnt(1)
	global_store_b32 v4, v0, s[22:23]
	s_waitcnt vmcnt(0)
	global_store_b32 v4, v1, s[18:19]
	s_branch .LBB6_104
.LBB6_110:
	s_ashr_i32 s11, s10, 31
	v_mov_b32_e32 v0, 0
	s_lshl_b64 s[4:5], s[10:11], 3
	v_cvt_f64_i32_e32 v[7:8], s35
	s_add_u32 s4, s6, s4
	s_addc_u32 s5, s7, s5
	s_clause 0x1
	global_load_b64 v[1:2], v0, s[6:7]
	global_load_b64 v[3:4], v0, s[4:5] offset:-8
	s_load_b64 s[0:1], s[0:1], 0x18
	s_waitcnt vmcnt(0)
	v_cmp_lt_f64_e64 vcc_lo, |v[1:2]|, |v[3:4]|
	v_dual_cndmask_b32 v5, v1, v3 :: v_dual_cndmask_b32 v6, v2, v4
	s_and_not1_b32 vcc_lo, exec_lo, s33
	s_delay_alu instid0(VALU_DEP_1) | instskip(NEXT) | instid1(VALU_DEP_1)
	v_mul_f64 v[5:6], |v[5:6]|, s[30:31]
	v_fma_f64 v[1:2], -v[5:6], v[7:8], v[1:2]
	v_fma_f64 v[3:4], v[5:6], v[7:8], v[3:4]
	s_delay_alu instid0(VALU_DEP_2) | instskip(NEXT) | instid1(VALU_DEP_2)
	v_add_f64 v[1:2], v[1:2], -s[8:9]
	v_add_f64 v[4:5], s[8:9], v[3:4]
	v_cndmask_b32_e64 v3, 0, 1, s33
	s_clause 0x1
	global_store_b64 v0, v[1:2], s[6:7]
	global_store_b64 v0, v[4:5], s[4:5] offset:-8
	s_cbranch_vccnz .LBB6_116
; %bb.111:
	s_max_i32 s11, s10, 2
	s_mov_b32 s15, 0
	s_add_i32 s11, s11, -1
	s_add_u32 s4, s12, s28
	s_addc_u32 s5, s13, s29
	s_add_u32 s4, s4, 4
	s_addc_u32 s5, s5, 0
	s_branch .LBB6_113
	.p2align	6
.LBB6_112:                              ;   in Loop: Header=BB6_113 Depth=1
	s_add_i32 s15, s15, 1
	s_add_u32 s4, s4, 4
	s_addc_u32 s5, s5, 0
	s_cmp_eq_u32 s11, s15
	s_mov_b32 s14, s11
	s_cselect_b32 s16, -1, 0
	s_delay_alu instid0(SALU_CYCLE_1)
	s_and_not1_b32 vcc_lo, exec_lo, s16
	s_cbranch_vccz .LBB6_115
.LBB6_113:                              ; =>This Inner Loop Header: Depth=1
	global_load_b32 v1, v0, s[4:5]
	s_waitcnt vmcnt(0) lgkmcnt(0)
	v_cmp_le_i32_e32 vcc_lo, s0, v1
	s_cbranch_vccz .LBB6_112
; %bb.114:
	s_mov_b32 s14, s15
                                        ; implicit-def: $sgpr4_sgpr5
.LBB6_115:
	s_mov_b32 s15, 0
	s_branch .LBB6_117
.LBB6_116:
	s_mov_b64 s[14:15], 0
.LBB6_117:
	s_delay_alu instid0(SALU_CYCLE_1)
	s_lshl_b64 s[4:5], s[14:15], 3
	v_mov_b32_e32 v0, 0
	s_add_u32 s4, s6, s4
	s_addc_u32 s5, s7, s5
	v_cmp_ne_u32_e32 vcc_lo, 1, v3
	s_mov_b32 s11, 1
	global_load_b64 v[1:2], v0, s[4:5]
	s_cbranch_vccnz .LBB6_123
; %bb.118:
	s_max_i32 s10, s10, 2
	s_delay_alu instid0(SALU_CYCLE_1)
	s_add_i32 s14, s10, -1
	s_waitcnt lgkmcnt(0)
	s_add_u32 s0, s12, s28
	s_addc_u32 s5, s13, s29
	s_add_u32 s4, s0, 4
	s_addc_u32 s5, s5, 0
	s_branch .LBB6_120
	.p2align	6
.LBB6_119:
	s_mov_b32 s0, s11
                                        ; implicit-def: $sgpr4_sgpr5
	s_branch .LBB6_122
.LBB6_120:                              ; =>This Inner Loop Header: Depth=1
	global_load_b32 v3, v0, s[4:5]
	s_waitcnt vmcnt(0)
	v_cmp_gt_i32_e32 vcc_lo, s1, v3
	s_cbranch_vccz .LBB6_119
; %bb.121:                              ;   in Loop: Header=BB6_120 Depth=1
	s_add_i32 s11, s11, 1
	s_add_u32 s4, s4, 4
	s_addc_u32 s5, s5, 0
	s_cmp_eq_u32 s10, s11
	s_mov_b32 s0, s14
	s_cselect_b32 s12, -1, 0
	s_delay_alu instid0(SALU_CYCLE_1)
	s_and_not1_b32 vcc_lo, exec_lo, s12
	s_cbranch_vccnz .LBB6_120
.LBB6_122:
	s_ashr_i32 s1, s0, 31
	s_branch .LBB6_124
.LBB6_123:
	s_waitcnt lgkmcnt(0)
	s_mov_b64 s[0:1], 0
.LBB6_124:
	s_delay_alu instid0(SALU_CYCLE_1)
	s_lshl_b64 s[0:1], s[0:1], 3
	v_mov_b32_e32 v0, 0
	s_add_u32 s0, s6, s0
	s_addc_u32 s1, s7, s1
	global_load_b64 v[3:4], v0, s[0:1]
.LBB6_125:
	s_or_b32 exec_lo, exec_lo, s3
	s_and_saveexec_b32 s0, s2
	s_cbranch_execz .LBB6_74
.LBB6_126:
	s_lshl_b64 s[0:1], s[40:41], 3
	v_dual_mov_b32 v0, 0 :: v_dual_mov_b32 v5, s8
	s_add_u32 s0, s20, s0
	s_addc_u32 s1, s21, s1
	s_lshl_b32 s2, s40, 1
	v_mov_b32_e32 v6, s9
	s_ashr_i32 s3, s2, 31
	s_delay_alu instid0(SALU_CYCLE_1) | instskip(NEXT) | instid1(SALU_CYCLE_1)
	s_lshl_b64 s[2:3], s[2:3], 3
	s_add_u32 s2, s24, s2
	s_addc_u32 s3, s25, s3
	s_cmpk_eq_i32 s34, 0xe7
	s_cselect_b32 s4, -1, 0
	s_waitcnt vmcnt(0)
	v_cndmask_b32_e64 v4, v4, 0, s4
	v_cndmask_b32_e64 v3, v3, 0, s4
	;; [unrolled: 1-line block ×4, first 2 shown]
	s_clause 0x1
	global_store_b64 v0, v[5:6], s[0:1]
	global_store_b128 v0, v[1:4], s[2:3]
	s_nop 0
	s_sendmsg sendmsg(MSG_DEALLOC_VGPRS)
	s_endpgm
	.section	.rodata,"a",@progbits
	.p2align	6, 0x0
	.amdhsa_kernel _ZN9rocsolver6v33100L22stebz_splitting_kernelIdPdEEv15rocblas_erange_iT_S4_iiT0_iiS5_iiPiPS4_lS6_lS6_S7_S7_S7_S7_S6_S4_S4_
		.amdhsa_group_segment_fixed_size 3072
		.amdhsa_private_segment_fixed_size 0
		.amdhsa_kernarg_size 168
		.amdhsa_user_sgpr_count 14
		.amdhsa_user_sgpr_dispatch_ptr 0
		.amdhsa_user_sgpr_queue_ptr 0
		.amdhsa_user_sgpr_kernarg_segment_ptr 1
		.amdhsa_user_sgpr_dispatch_id 0
		.amdhsa_user_sgpr_private_segment_size 0
		.amdhsa_wavefront_size32 1
		.amdhsa_uses_dynamic_stack 0
		.amdhsa_enable_private_segment 0
		.amdhsa_system_sgpr_workgroup_id_x 1
		.amdhsa_system_sgpr_workgroup_id_y 1
		.amdhsa_system_sgpr_workgroup_id_z 0
		.amdhsa_system_sgpr_workgroup_info 0
		.amdhsa_system_vgpr_workitem_id 0
		.amdhsa_next_free_vgpr 26
		.amdhsa_next_free_sgpr 56
		.amdhsa_reserve_vcc 1
		.amdhsa_float_round_mode_32 0
		.amdhsa_float_round_mode_16_64 0
		.amdhsa_float_denorm_mode_32 3
		.amdhsa_float_denorm_mode_16_64 3
		.amdhsa_dx10_clamp 1
		.amdhsa_ieee_mode 1
		.amdhsa_fp16_overflow 0
		.amdhsa_workgroup_processor_mode 1
		.amdhsa_memory_ordered 1
		.amdhsa_forward_progress 0
		.amdhsa_shared_vgpr_count 0
		.amdhsa_exception_fp_ieee_invalid_op 0
		.amdhsa_exception_fp_denorm_src 0
		.amdhsa_exception_fp_ieee_div_zero 0
		.amdhsa_exception_fp_ieee_overflow 0
		.amdhsa_exception_fp_ieee_underflow 0
		.amdhsa_exception_fp_ieee_inexact 0
		.amdhsa_exception_int_div_zero 0
	.end_amdhsa_kernel
	.section	.text._ZN9rocsolver6v33100L22stebz_splitting_kernelIdPdEEv15rocblas_erange_iT_S4_iiT0_iiS5_iiPiPS4_lS6_lS6_S7_S7_S7_S7_S6_S4_S4_,"axG",@progbits,_ZN9rocsolver6v33100L22stebz_splitting_kernelIdPdEEv15rocblas_erange_iT_S4_iiT0_iiS5_iiPiPS4_lS6_lS6_S7_S7_S7_S7_S6_S4_S4_,comdat
.Lfunc_end6:
	.size	_ZN9rocsolver6v33100L22stebz_splitting_kernelIdPdEEv15rocblas_erange_iT_S4_iiT0_iiS5_iiPiPS4_lS6_lS6_S7_S7_S7_S7_S6_S4_S4_, .Lfunc_end6-_ZN9rocsolver6v33100L22stebz_splitting_kernelIdPdEEv15rocblas_erange_iT_S4_iiT0_iiS5_iiPiPS4_lS6_lS6_S7_S7_S7_S7_S6_S4_S4_
                                        ; -- End function
	.section	.AMDGPU.csdata,"",@progbits
; Kernel info:
; codeLenInByte = 6732
; NumSgprs: 58
; NumVgprs: 26
; ScratchSize: 0
; MemoryBound: 0
; FloatMode: 240
; IeeeMode: 1
; LDSByteSize: 3072 bytes/workgroup (compile time only)
; SGPRBlocks: 7
; VGPRBlocks: 3
; NumSGPRsForWavesPerEU: 58
; NumVGPRsForWavesPerEU: 26
; Occupancy: 16
; WaveLimiterHint : 0
; COMPUTE_PGM_RSRC2:SCRATCH_EN: 0
; COMPUTE_PGM_RSRC2:USER_SGPR: 14
; COMPUTE_PGM_RSRC2:TRAP_HANDLER: 0
; COMPUTE_PGM_RSRC2:TGID_X_EN: 1
; COMPUTE_PGM_RSRC2:TGID_Y_EN: 1
; COMPUTE_PGM_RSRC2:TGID_Z_EN: 0
; COMPUTE_PGM_RSRC2:TIDIG_COMP_CNT: 0
	.section	.text._ZN9rocsolver6v33100L22stebz_bisection_kernelIdPdEEv15rocblas_erange_iT_T0_iiS5_iiPiPS4_lS6_lS6_lS6_S6_S7_S7_S7_S7_S6_S4_S4_,"axG",@progbits,_ZN9rocsolver6v33100L22stebz_bisection_kernelIdPdEEv15rocblas_erange_iT_T0_iiS5_iiPiPS4_lS6_lS6_lS6_S6_S7_S7_S7_S7_S6_S4_S4_,comdat
	.globl	_ZN9rocsolver6v33100L22stebz_bisection_kernelIdPdEEv15rocblas_erange_iT_T0_iiS5_iiPiPS4_lS6_lS6_lS6_S6_S7_S7_S7_S7_S6_S4_S4_ ; -- Begin function _ZN9rocsolver6v33100L22stebz_bisection_kernelIdPdEEv15rocblas_erange_iT_T0_iiS5_iiPiPS4_lS6_lS6_lS6_S6_S7_S7_S7_S7_S6_S4_S4_
	.p2align	8
	.type	_ZN9rocsolver6v33100L22stebz_bisection_kernelIdPdEEv15rocblas_erange_iT_T0_iiS5_iiPiPS4_lS6_lS6_lS6_S6_S7_S7_S7_S7_S6_S4_S4_,@function
_ZN9rocsolver6v33100L22stebz_bisection_kernelIdPdEEv15rocblas_erange_iT_T0_iiS5_iiPiPS4_lS6_lS6_lS6_S6_S7_S7_S7_S7_S6_S4_S4_: ; @_ZN9rocsolver6v33100L22stebz_bisection_kernelIdPdEEv15rocblas_erange_iT_T0_iiS5_iiPiPS4_lS6_lS6_lS6_S6_S7_S7_S7_S7_S6_S4_S4_
; %bb.0:
	s_load_b512 s[16:31], s[0:1], 0x30
	s_mov_b32 s2, s15
	s_ashr_i32 s3, s15, 31
	s_delay_alu instid0(SALU_CYCLE_1)
	s_lshl_b64 s[34:35], s[2:3], 2
	s_waitcnt lgkmcnt(0)
	s_add_u32 s4, s16, s34
	s_addc_u32 s5, s17, s35
	s_load_b32 s33, s[4:5], 0x0
	s_waitcnt lgkmcnt(0)
	s_cmp_ge_i32 s14, s33
	s_cbranch_scc1 .LBB7_98
; %bb.1:
	s_clause 0x3
	s_load_b256 s[36:43], s[0:1], 0x8
	s_load_b64 s[4:5], s[0:1], 0x28
	s_load_b64 s[12:13], s[0:1], 0x0
	s_load_b256 s[44:51], s[0:1], 0x70
	s_mul_i32 s7, s2, s21
	s_mul_hi_u32 s15, s2, s20
	s_mul_i32 s21, s3, s20
	s_mul_i32 s6, s2, s20
	v_lshl_or_b32 v19, v0, 2, 0x1800
	v_lshl_or_b32 v21, v0, 4, 0x1000
	v_dual_mov_b32 v22, 0 :: v_dual_mov_b32 v23, 1
                                        ; implicit-def: $vgpr24
                                        ; implicit-def: $vgpr25
                                        ; implicit-def: $vgpr26
                                        ; implicit-def: $vgpr27
                                        ; implicit-def: $vgpr28
	s_waitcnt lgkmcnt(0)
	s_mul_hi_i32 s11, s41, s2
	s_mul_i32 s10, s41, s2
	s_ashr_i32 s9, s40, 31
	s_lshl_b64 s[52:53], s[10:11], 3
	s_mov_b32 s8, s40
	s_add_u32 s17, s38, s52
	s_addc_u32 s20, s39, s53
	s_lshl_b64 s[56:57], s[8:9], 3
	s_mul_hi_i32 s11, s5, s2
	s_mul_i32 s10, s5, s2
	s_add_u32 s60, s17, s56
	s_addc_u32 s61, s20, s57
	s_lshl_b64 s[54:55], s[10:11], 3
	s_mov_b32 s16, s4
	s_ashr_i32 s17, s4, 31
	s_add_u32 s4, s42, s54
	s_addc_u32 s5, s43, s55
	s_lshl_b64 s[58:59], s[16:17], 3
	s_mul_i32 s8, s2, s25
	s_add_u32 s62, s4, s58
	s_addc_u32 s63, s5, s59
	s_add_i32 s4, s15, s7
	s_mul_hi_u32 s9, s2, s24
	s_add_i32 s7, s4, s21
	s_mul_i32 s10, s3, s24
	s_lshl_b64 s[4:5], s[6:7], 3
	s_mul_i32 s6, s2, s24
	s_add_u32 s64, s18, s4
	s_addc_u32 s65, s19, s5
	s_add_i32 s4, s9, s8
	s_mul_i32 s8, s2, s29
	s_add_i32 s7, s4, s10
	s_mul_hi_u32 s9, s2, s28
	s_lshl_b64 s[4:5], s[6:7], 2
	s_mul_i32 s6, s3, s28
	s_add_u32 s66, s22, s4
	s_addc_u32 s67, s23, s5
	s_add_i32 s5, s9, s8
	s_mul_i32 s4, s2, s28
	s_add_i32 s5, s5, s6
	s_mov_b32 s20, 0x55555555
	s_lshl_b64 s[4:5], s[4:5], 2
	s_mov_b32 s21, 0x3fe55555
	s_add_u32 s68, s26, s4
	s_addc_u32 s69, s27, s5
	s_add_i32 s4, s13, -1
	s_mov_b32 s24, 0xbf559e2b
	s_mul_i32 s4, s4, s2
	s_mov_b32 s25, 0x3fc3ab76
	s_ashr_i32 s5, s4, 31
	s_mov_b32 s26, 0xd7f4df2e
	s_lshl_b64 s[4:5], s[4:5], 3
	s_mov_b32 s27, 0x3fc7474d
	s_add_u32 s70, s48, s4
	s_addc_u32 s71, s49, s5
	s_lshl_b32 s4, s2, 1
	s_mov_b32 s28, 0x16291751
	s_ashr_i32 s5, s4, 31
	s_mov_b32 s29, 0x3fcc71c0
	s_lshl_b64 s[4:5], s[4:5], 3
	s_mov_b32 s40, 0x55555780
	s_add_u32 s16, s50, s4
	s_addc_u32 s17, s51, s5
	s_lshl_b64 s[4:5], s[2:3], 3
	s_mov_b32 s41, s21
	s_add_u32 s4, s46, s4
	s_addc_u32 s5, s47, s5
	s_mov_b32 s46, 0x3b39803f
	s_load_b64 s[18:19], s[4:5], 0x0
	s_load_b256 s[4:11], s[0:1], 0x90
	s_mul_i32 s0, s2, s13
	s_waitcnt lgkmcnt(0)
	s_add_u32 s10, s30, s34
	s_addc_u32 s11, s31, s35
	s_lshl_b32 s2, s0, 2
	s_mov_b32 s30, 0x9b27acf1
	s_ashr_i32 s3, s2, 31
	s_mov_b32 s31, 0x3fd24924
	s_lshl_b64 s[22:23], s[2:3], 3
	s_mov_b32 s34, 0x998ef7b6
	s_mov_b32 s35, 0x3fd99999
	;; [unrolled: 1-line block ×3, first 2 shown]
	v_frexp_mant_f64_e32 v[1:2], s[18:19]
	s_add_u32 s72, s4, s22
	s_addc_u32 s73, s5, s23
	s_lshl_b64 s[2:3], s[2:3], 2
	v_frexp_exp_i32_f64_e32 v3, s[18:19]
	s_add_u32 s74, s6, s2
	s_addc_u32 s75, s7, s3
	s_ashr_i32 s1, s0, 31
	s_mov_b32 s6, 0
	s_lshl_b64 s[0:1], s[0:1], 2
	s_mov_b32 s22, 0x6b47b09a
	s_add_u32 s76, s44, s0
	s_addc_u32 s77, s45, s1
	s_cmpk_lg_i32 s12, 0xe7
	s_mov_b32 s23, 0x3fc38538
	s_cselect_b32 s12, -1, 0
	s_mov_b32 s44, 0xfefa39ef
	s_mov_b32 s45, 0x3fe62e42
	v_cmp_class_f64_e64 s3, s[18:19], 0x204
	v_cmp_eq_u32_e64 s1, 0, v0
	v_cmp_ne_u32_e64 s2, 0, v0
	v_cmp_gt_f64_e32 vcc_lo, s[20:21], v[1:2]
	s_and_b32 s0, vcc_lo, exec_lo
	s_cselect_b32 s7, 2.0, 0x3ff00000
	v_subrev_co_ci_u32_e64 v15, s0, 0, v3, vcc_lo
	v_mul_f64 v[1:2], v[1:2], s[6:7]
	v_cmp_nlt_f64_e64 vcc_lo, s[18:19], 0
	v_cmp_lt_f64_e64 s0, s[36:37], 0
	s_add_u32 s78, s68, -4
	s_addc_u32 s79, s69, -1
	s_add_u32 s4, s52, s56
	s_addc_u32 s5, s53, s57
	s_add_u32 s4, s4, s38
	s_addc_u32 s5, s5, s39
	;; [unrolled: 2-line block ×3, first 2 shown]
	s_delay_alu instid0(VALU_DEP_3) | instskip(SKIP_1) | instid1(VALU_DEP_2)
	v_add_f64 v[3:4], v[1:2], 1.0
	v_add_f64 v[9:10], v[1:2], -1.0
	v_rcp_f64_e32 v[5:6], v[3:4]
	v_add_f64 v[11:12], v[3:4], -1.0
	s_delay_alu instid0(VALU_DEP_1) | instskip(SKIP_2) | instid1(VALU_DEP_1)
	v_add_f64 v[1:2], v[1:2], -v[11:12]
	s_waitcnt_depctr 0xfff
	v_fma_f64 v[7:8], -v[3:4], v[5:6], 1.0
	v_fma_f64 v[5:6], v[7:8], v[5:6], v[5:6]
	s_delay_alu instid0(VALU_DEP_1) | instskip(NEXT) | instid1(VALU_DEP_1)
	v_fma_f64 v[7:8], -v[3:4], v[5:6], 1.0
	v_fma_f64 v[5:6], v[7:8], v[5:6], v[5:6]
	s_delay_alu instid0(VALU_DEP_1) | instskip(NEXT) | instid1(VALU_DEP_1)
	v_mul_f64 v[7:8], v[9:10], v[5:6]
	v_mul_f64 v[13:14], v[3:4], v[7:8]
	s_delay_alu instid0(VALU_DEP_1) | instskip(NEXT) | instid1(VALU_DEP_1)
	v_fma_f64 v[3:4], v[7:8], v[3:4], -v[13:14]
	v_fma_f64 v[1:2], v[7:8], v[1:2], v[3:4]
	s_delay_alu instid0(VALU_DEP_1) | instskip(NEXT) | instid1(VALU_DEP_1)
	v_add_f64 v[3:4], v[13:14], v[1:2]
	v_add_f64 v[11:12], v[9:10], -v[3:4]
	v_add_f64 v[13:14], v[3:4], -v[13:14]
	s_delay_alu instid0(VALU_DEP_2) | instskip(NEXT) | instid1(VALU_DEP_2)
	v_add_f64 v[9:10], v[9:10], -v[11:12]
	v_add_f64 v[1:2], v[13:14], -v[1:2]
	s_delay_alu instid0(VALU_DEP_2) | instskip(NEXT) | instid1(VALU_DEP_1)
	v_add_f64 v[3:4], v[9:10], -v[3:4]
	v_add_f64 v[1:2], v[1:2], v[3:4]
	s_delay_alu instid0(VALU_DEP_1) | instskip(NEXT) | instid1(VALU_DEP_1)
	v_add_f64 v[1:2], v[11:12], v[1:2]
	v_mul_f64 v[1:2], v[5:6], v[1:2]
	s_delay_alu instid0(VALU_DEP_1) | instskip(NEXT) | instid1(VALU_DEP_1)
	v_add_f64 v[3:4], v[7:8], v[1:2]
	v_mul_f64 v[5:6], v[3:4], v[3:4]
	s_delay_alu instid0(VALU_DEP_1) | instskip(SKIP_1) | instid1(VALU_DEP_2)
	v_fma_f64 v[9:10], v[5:6], s[24:25], s[22:23]
	v_mul_f64 v[11:12], v[3:4], v[5:6]
	v_fma_f64 v[9:10], v[5:6], v[9:10], s[26:27]
	s_delay_alu instid0(VALU_DEP_1) | instskip(NEXT) | instid1(VALU_DEP_1)
	v_fma_f64 v[9:10], v[5:6], v[9:10], s[28:29]
	v_fma_f64 v[9:10], v[5:6], v[9:10], s[30:31]
	s_delay_alu instid0(VALU_DEP_1) | instskip(NEXT) | instid1(VALU_DEP_1)
	v_fma_f64 v[9:10], v[5:6], v[9:10], s[34:35]
	v_fma_f64 v[5:6], v[5:6], v[9:10], s[40:41]
	v_ldexp_f64 v[9:10], v[3:4], 1
	v_add_f64 v[3:4], v[3:4], -v[7:8]
	s_delay_alu instid0(VALU_DEP_3) | instskip(SKIP_1) | instid1(VALU_DEP_3)
	v_mul_f64 v[5:6], v[11:12], v[5:6]
	v_cvt_f64_i32_e32 v[11:12], v15
	v_add_f64 v[1:2], v[1:2], -v[3:4]
	s_delay_alu instid0(VALU_DEP_3) | instskip(NEXT) | instid1(VALU_DEP_3)
	v_add_f64 v[7:8], v[9:10], v[5:6]
	v_mul_f64 v[13:14], v[11:12], s[44:45]
	s_delay_alu instid0(VALU_DEP_3) | instskip(NEXT) | instid1(VALU_DEP_3)
	v_ldexp_f64 v[1:2], v[1:2], 1
	v_add_f64 v[3:4], v[7:8], -v[9:10]
	s_delay_alu instid0(VALU_DEP_3) | instskip(NEXT) | instid1(VALU_DEP_2)
	v_fma_f64 v[9:10], v[11:12], s[44:45], -v[13:14]
	v_add_f64 v[3:4], v[5:6], -v[3:4]
	s_delay_alu instid0(VALU_DEP_2) | instskip(NEXT) | instid1(VALU_DEP_2)
	v_fma_f64 v[5:6], v[11:12], s[46:47], v[9:10]
	v_add_f64 v[1:2], v[1:2], v[3:4]
	s_delay_alu instid0(VALU_DEP_2) | instskip(NEXT) | instid1(VALU_DEP_2)
	v_add_f64 v[3:4], v[13:14], v[5:6]
	v_add_f64 v[9:10], v[7:8], v[1:2]
	s_delay_alu instid0(VALU_DEP_2) | instskip(NEXT) | instid1(VALU_DEP_2)
	v_add_f64 v[13:14], v[3:4], -v[13:14]
	v_add_f64 v[11:12], v[3:4], v[9:10]
	v_add_f64 v[7:8], v[9:10], -v[7:8]
	s_delay_alu instid0(VALU_DEP_3) | instskip(NEXT) | instid1(VALU_DEP_3)
	v_add_f64 v[5:6], v[5:6], -v[13:14]
	v_add_f64 v[15:16], v[11:12], -v[3:4]
	s_delay_alu instid0(VALU_DEP_3) | instskip(NEXT) | instid1(VALU_DEP_2)
	v_add_f64 v[1:2], v[1:2], -v[7:8]
	v_add_f64 v[17:18], v[11:12], -v[15:16]
	;; [unrolled: 1-line block ×3, first 2 shown]
	s_delay_alu instid0(VALU_DEP_3) | instskip(NEXT) | instid1(VALU_DEP_3)
	v_add_f64 v[9:10], v[5:6], v[1:2]
	v_add_f64 v[3:4], v[3:4], -v[17:18]
	s_delay_alu instid0(VALU_DEP_1) | instskip(NEXT) | instid1(VALU_DEP_3)
	v_add_f64 v[3:4], v[7:8], v[3:4]
	v_add_f64 v[7:8], v[9:10], -v[5:6]
	s_delay_alu instid0(VALU_DEP_2) | instskip(NEXT) | instid1(VALU_DEP_2)
	v_add_f64 v[3:4], v[9:10], v[3:4]
	v_add_f64 v[9:10], v[9:10], -v[7:8]
	v_add_f64 v[1:2], v[1:2], -v[7:8]
	s_delay_alu instid0(VALU_DEP_3) | instskip(NEXT) | instid1(VALU_DEP_3)
	v_add_f64 v[13:14], v[11:12], v[3:4]
	v_add_f64 v[5:6], v[5:6], -v[9:10]
	s_delay_alu instid0(VALU_DEP_2) | instskip(NEXT) | instid1(VALU_DEP_2)
	v_add_f64 v[7:8], v[13:14], -v[11:12]
	v_add_f64 v[1:2], v[1:2], v[5:6]
	s_delay_alu instid0(VALU_DEP_2) | instskip(NEXT) | instid1(VALU_DEP_1)
	v_add_f64 v[3:4], v[3:4], -v[7:8]
	v_add_f64 v[1:2], v[1:2], v[3:4]
	s_delay_alu instid0(VALU_DEP_1) | instskip(SKIP_1) | instid1(VALU_DEP_2)
	v_add_f64 v[1:2], v[13:14], v[1:2]
	v_add_f64 v[13:14], s[8:9], s[8:9]
	v_cndmask_b32_e64 v2, v2, s19, s3
	s_delay_alu instid0(VALU_DEP_3)
	v_cndmask_b32_e64 v1, v1, s18, s3
	s_add_u32 s3, s54, s58
	s_addc_u32 s4, s55, s59
	s_add_u32 s3, s3, s42
	v_cndmask_b32_e32 v2, 0x7ff80000, v2, vcc_lo
	v_cmp_nle_f64_e64 vcc_lo, s[18:19], 0
	v_lshlrev_b32_e32 v20, 5, v0
	s_addc_u32 s4, s4, s43
	s_add_u32 s82, s3, 8
	s_addc_u32 s83, s4, 0
	v_cndmask_b32_e32 v15, 0, v1, vcc_lo
	v_cmp_neq_f64_e64 vcc_lo, s[18:19], 0
	v_cndmask_b32_e32 v16, 0xfff00000, v2, vcc_lo
	s_branch .LBB7_4
.LBB7_2:                                ;   in Loop: Header=BB7_4 Depth=1
	s_or_b32 exec_lo, exec_lo, s3
	v_dual_mov_b32 v4, v28 :: v_dual_mov_b32 v31, v27
	v_dual_mov_b32 v29, v26 :: v_dual_mov_b32 v32, v25
	v_mov_b32_e32 v30, v24
.LBB7_3:                                ;   in Loop: Header=BB7_4 Depth=1
	s_delay_alu instid0(VALU_DEP_1) | instskip(NEXT) | instid1(VALU_DEP_3)
	v_dual_mov_b32 v24, v30 :: v_dual_mov_b32 v25, v32
	v_dual_mov_b32 v26, v29 :: v_dual_mov_b32 v27, v31
	v_mov_b32_e32 v28, v4
	s_add_i32 s14, s14, 64
	s_waitcnt vmcnt(0)
	s_waitcnt_vscnt null, 0x0
	s_cmp_lt_i32 s14, s33
	s_barrier
	buffer_gl0_inv
	s_cbranch_scc0 .LBB7_98
.LBB7_4:                                ; =>This Loop Header: Depth=1
                                        ;     Child Loop BB7_9 Depth 2
                                        ;     Child Loop BB7_22 Depth 2
	;; [unrolled: 1-line block ×4, first 2 shown]
                                        ;       Child Loop BB7_42 Depth 3
                                        ;         Child Loop BB7_45 Depth 4
                                        ;         Child Loop BB7_58 Depth 4
                                        ;     Child Loop BB7_77 Depth 2
                                        ;       Child Loop BB7_79 Depth 3
	s_ashr_i32 s15, s14, 31
	s_cmp_eq_u32 s14, 0
	s_mov_b32 s38, 0
	s_cbranch_scc1 .LBB7_6
; %bb.5:                                ;   in Loop: Header=BB7_4 Depth=1
	s_lshl_b64 s[4:5], s[14:15], 2
	s_delay_alu instid0(SALU_CYCLE_1)
	s_add_u32 s4, s78, s4
	s_addc_u32 s5, s79, s5
	global_load_b32 v1, v22, s[4:5]
	s_waitcnt vmcnt(0)
	v_readfirstlane_b32 s38, v1
.LBB7_6:                                ;   in Loop: Header=BB7_4 Depth=1
	s_lshl_b64 s[42:43], s[14:15], 2
	s_delay_alu instid0(SALU_CYCLE_1) | instskip(SKIP_4) | instid1(VALU_DEP_1)
	s_add_u32 s4, s68, s42
	s_addc_u32 s5, s69, s43
	global_load_b32 v1, v22, s[4:5]
	s_waitcnt vmcnt(0)
	v_readfirstlane_b32 s3, v1
	s_sub_i32 s15, s3, s38
	s_delay_alu instid0(SALU_CYCLE_1)
	s_cmp_lg_u32 s15, 1
	s_cbranch_scc0 .LBB7_16
; %bb.7:                                ;   in Loop: Header=BB7_4 Depth=1
	s_ashr_i32 s39, s38, 31
	s_delay_alu instid0(SALU_CYCLE_1) | instskip(NEXT) | instid1(SALU_CYCLE_1)
	s_lshl_b64 s[4:5], s[38:39], 3
	s_add_u32 s48, s60, s4
	s_addc_u32 s49, s61, s5
	s_add_u32 s50, s62, s4
	s_addc_u32 s51, s63, s5
	s_clause 0x1
	global_load_b64 v[9:10], v22, s[48:49]
	global_load_b64 v[5:6], v22, s[50:51]
	s_cmp_lt_i32 s15, 3
	s_waitcnt vmcnt(0)
	v_add_f64 v[1:2], v[9:10], -|v[5:6]|
	v_add_f64 v[3:4], v[9:10], |v[5:6]|
	v_and_b32_e32 v6, 0x7fffffff, v6
	s_cbranch_scc1 .LBB7_10
; %bb.8:                                ;   in Loop: Header=BB7_4 Depth=1
	s_add_i32 s7, s15, -2
	s_add_u32 s50, s80, s4
	s_addc_u32 s51, s81, s5
	s_add_u32 s52, s82, s4
	s_addc_u32 s53, s83, s5
	.p2align	6
.LBB7_9:                                ;   Parent Loop BB7_4 Depth=1
                                        ; =>  This Inner Loop Header: Depth=2
	s_clause 0x1
	global_load_b64 v[7:8], v22, s[50:51]
	global_load_b64 v[11:12], v22, s[52:53]
	s_add_i32 s7, s7, -1
	s_add_u32 s50, s50, 8
	s_addc_u32 s51, s51, 0
	s_add_u32 s52, s52, 8
	s_addc_u32 s53, s53, 0
	s_cmp_lg_u32 s7, 0
	s_waitcnt vmcnt(1)
	v_add_f64 v[17:18], v[7:8], -v[5:6]
	v_add_f64 v[5:6], v[5:6], v[7:8]
	s_waitcnt vmcnt(0)
	s_delay_alu instid0(VALU_DEP_2) | instskip(NEXT) | instid1(VALU_DEP_2)
	v_add_f64 v[7:8], v[17:18], -|v[11:12]|
	v_add_f64 v[17:18], v[5:6], |v[11:12]|
	v_dual_mov_b32 v5, v11 :: v_dual_and_b32 v6, 0x7fffffff, v12
	s_delay_alu instid0(VALU_DEP_3) | instskip(NEXT) | instid1(VALU_DEP_3)
	v_cmp_lt_f64_e32 vcc_lo, v[7:8], v[1:2]
	v_cmp_lt_f64_e64 s3, v[3:4], v[17:18]
	v_dual_cndmask_b32 v2, v2, v8 :: v_dual_cndmask_b32 v1, v1, v7
	s_delay_alu instid0(VALU_DEP_2)
	v_cndmask_b32_e64 v4, v4, v18, s3
	v_cndmask_b32_e64 v3, v3, v17, s3
	s_cbranch_scc1 .LBB7_9
.LBB7_10:                               ;   in Loop: Header=BB7_4 Depth=1
	s_add_i32 s50, s15, -1
	s_delay_alu instid0(SALU_CYCLE_1) | instskip(NEXT) | instid1(SALU_CYCLE_1)
	s_ashr_i32 s51, s50, 31
	s_lshl_b64 s[52:53], s[50:51], 3
	s_delay_alu instid0(SALU_CYCLE_1)
	s_add_u32 s52, s48, s52
	s_addc_u32 s53, s49, s53
	global_load_b64 v[7:8], v22, s[52:53]
	s_waitcnt vmcnt(0)
	v_add_f64 v[11:12], v[7:8], -v[5:6]
	v_add_f64 v[5:6], v[5:6], v[7:8]
	s_delay_alu instid0(VALU_DEP_2) | instskip(NEXT) | instid1(VALU_DEP_2)
	v_cmp_lt_f64_e32 vcc_lo, v[11:12], v[1:2]
	v_cmp_lt_f64_e64 s3, v[3:4], v[5:6]
	v_cndmask_b32_e32 v7, v2, v12, vcc_lo
	s_delay_alu instid0(VALU_DEP_2) | instskip(SKIP_3) | instid1(VALU_DEP_2)
	v_cndmask_b32_e64 v4, v4, v6, s3
	v_cndmask_b32_e32 v6, v1, v11, vcc_lo
	v_cndmask_b32_e64 v3, v3, v5, s3
	v_cvt_f64_i32_e32 v[11:12], s15
	v_cmp_lt_f64_e64 vcc_lo, |v[6:7]|, |v[3:4]|
	v_dual_cndmask_b32 v2, v7, v4 :: v_dual_cndmask_b32 v1, v6, v3
	s_and_not1_b32 vcc_lo, exec_lo, s12
	s_delay_alu instid0(VALU_DEP_1) | instskip(NEXT) | instid1(VALU_DEP_1)
	v_mul_f64 v[1:2], |v[1:2]|, s[8:9]
	v_fma_f64 v[5:6], -v[1:2], v[11:12], v[6:7]
	v_fma_f64 v[3:4], v[1:2], v[11:12], v[3:4]
	s_delay_alu instid0(VALU_DEP_2) | instskip(NEXT) | instid1(VALU_DEP_2)
	v_add_f64 v[5:6], v[5:6], -s[18:19]
	v_add_f64 v[7:8], s[18:19], v[3:4]
	s_cbranch_vccnz .LBB7_12
; %bb.11:                               ;   in Loop: Header=BB7_4 Depth=1
	global_load_b128 v[29:32], v22, s[16:17]
	s_waitcnt vmcnt(0)
	v_cmp_lt_f64_e32 vcc_lo, v[5:6], v[29:30]
	v_cmp_lt_f64_e64 s3, v[31:32], v[7:8]
	v_dual_cndmask_b32 v6, v6, v30 :: v_dual_cndmask_b32 v5, v5, v29
	s_delay_alu instid0(VALU_DEP_2)
	v_cndmask_b32_e64 v8, v8, v32, s3
	v_cndmask_b32_e64 v7, v7, v31, s3
.LBB7_12:                               ;   in Loop: Header=BB7_4 Depth=1
	s_delay_alu instid0(VALU_DEP_1)
	v_cmp_nlt_f64_e32 vcc_lo, v[5:6], v[7:8]
	s_cbranch_vccz .LBB7_17
; %bb.13:                               ;   in Loop: Header=BB7_4 Depth=1
	s_and_saveexec_b32 s3, s1
	s_cbranch_execz .LBB7_15
; %bb.14:                               ;   in Loop: Header=BB7_4 Depth=1
	s_add_u32 s52, s76, s42
	s_addc_u32 s53, s77, s43
	ds_store_b16 v22, v22 offset:6660
	global_store_b32 v22, v22, s[52:53]
.LBB7_15:                               ;   in Loop: Header=BB7_4 Depth=1
	s_or_b32 exec_lo, exec_lo, s3
	s_mov_b32 s3, 0
	s_branch .LBB7_18
.LBB7_16:                               ;   in Loop: Header=BB7_4 Depth=1
                                        ; implicit-def: $vgpr30
                                        ; implicit-def: $vgpr32
                                        ; implicit-def: $vgpr29
                                        ; implicit-def: $vgpr31
                                        ; implicit-def: $vgpr4
	s_cbranch_execz .LBB7_3
	s_branch .LBB7_89
.LBB7_17:                               ;   in Loop: Header=BB7_4 Depth=1
	s_mov_b32 s3, -1
.LBB7_18:                               ;   in Loop: Header=BB7_4 Depth=1
	v_dual_mov_b32 v4, v28 :: v_dual_mov_b32 v31, v27
	v_dual_mov_b32 v29, v26 :: v_dual_mov_b32 v30, v24
	s_and_not1_b32 vcc_lo, exec_lo, s3
	s_cbranch_vccnz .LBB7_32
; %bb.19:                               ;   in Loop: Header=BB7_4 Depth=1
	v_add_f64 v[3:4], v[7:8], -v[5:6]
	s_mov_b32 s41, s21
	s_delay_alu instid0(VALU_DEP_1) | instskip(NEXT) | instid1(VALU_DEP_1)
	v_add_f64 v[3:4], s[18:19], v[3:4]
	v_frexp_mant_f64_e32 v[11:12], v[3:4]
	v_frexp_exp_i32_f64_e32 v17, v[3:4]
	s_delay_alu instid0(VALU_DEP_2) | instskip(SKIP_2) | instid1(VALU_DEP_2)
	v_cmp_gt_f64_e32 vcc_lo, s[20:21], v[11:12]
	s_and_b32 s3, vcc_lo, exec_lo
	s_cselect_b32 s7, 2.0, 0x3ff00000
	v_subrev_co_ci_u32_e64 v39, s3, 0, v17, vcc_lo
	v_mul_f64 v[11:12], v[11:12], s[6:7]
	v_cmp_class_f64_e64 vcc_lo, v[3:4], 0x204
	s_delay_alu instid0(VALU_DEP_2) | instskip(SKIP_1) | instid1(VALU_DEP_2)
	v_add_f64 v[17:18], v[11:12], 1.0
	v_add_f64 v[33:34], v[11:12], -1.0
	v_rcp_f64_e32 v[29:30], v[17:18]
	v_add_f64 v[35:36], v[17:18], -1.0
	s_delay_alu instid0(VALU_DEP_1) | instskip(SKIP_2) | instid1(VALU_DEP_1)
	v_add_f64 v[11:12], v[11:12], -v[35:36]
	s_waitcnt_depctr 0xfff
	v_fma_f64 v[31:32], -v[17:18], v[29:30], 1.0
	v_fma_f64 v[29:30], v[31:32], v[29:30], v[29:30]
	s_delay_alu instid0(VALU_DEP_1) | instskip(NEXT) | instid1(VALU_DEP_1)
	v_fma_f64 v[31:32], -v[17:18], v[29:30], 1.0
	v_fma_f64 v[29:30], v[31:32], v[29:30], v[29:30]
	s_delay_alu instid0(VALU_DEP_1) | instskip(NEXT) | instid1(VALU_DEP_1)
	v_mul_f64 v[31:32], v[33:34], v[29:30]
	v_mul_f64 v[37:38], v[17:18], v[31:32]
	s_delay_alu instid0(VALU_DEP_1) | instskip(NEXT) | instid1(VALU_DEP_1)
	v_fma_f64 v[17:18], v[31:32], v[17:18], -v[37:38]
	v_fma_f64 v[11:12], v[31:32], v[11:12], v[17:18]
	s_delay_alu instid0(VALU_DEP_1) | instskip(NEXT) | instid1(VALU_DEP_1)
	v_add_f64 v[17:18], v[37:38], v[11:12]
	v_add_f64 v[35:36], v[33:34], -v[17:18]
	v_add_f64 v[37:38], v[17:18], -v[37:38]
	s_delay_alu instid0(VALU_DEP_2) | instskip(NEXT) | instid1(VALU_DEP_2)
	v_add_f64 v[33:34], v[33:34], -v[35:36]
	v_add_f64 v[11:12], v[37:38], -v[11:12]
	s_delay_alu instid0(VALU_DEP_2) | instskip(NEXT) | instid1(VALU_DEP_1)
	v_add_f64 v[17:18], v[33:34], -v[17:18]
	v_add_f64 v[11:12], v[11:12], v[17:18]
	s_delay_alu instid0(VALU_DEP_1) | instskip(NEXT) | instid1(VALU_DEP_1)
	v_add_f64 v[11:12], v[35:36], v[11:12]
	v_mul_f64 v[11:12], v[29:30], v[11:12]
	s_delay_alu instid0(VALU_DEP_1) | instskip(NEXT) | instid1(VALU_DEP_1)
	v_add_f64 v[17:18], v[31:32], v[11:12]
	v_mul_f64 v[29:30], v[17:18], v[17:18]
	s_delay_alu instid0(VALU_DEP_1) | instskip(SKIP_1) | instid1(VALU_DEP_2)
	v_fma_f64 v[33:34], v[29:30], s[24:25], s[22:23]
	v_mul_f64 v[35:36], v[17:18], v[29:30]
	v_fma_f64 v[33:34], v[29:30], v[33:34], s[26:27]
	s_delay_alu instid0(VALU_DEP_1) | instskip(NEXT) | instid1(VALU_DEP_1)
	v_fma_f64 v[33:34], v[29:30], v[33:34], s[28:29]
	v_fma_f64 v[33:34], v[29:30], v[33:34], s[30:31]
	s_delay_alu instid0(VALU_DEP_1) | instskip(NEXT) | instid1(VALU_DEP_1)
	v_fma_f64 v[33:34], v[29:30], v[33:34], s[34:35]
	v_fma_f64 v[29:30], v[29:30], v[33:34], s[40:41]
	v_ldexp_f64 v[33:34], v[17:18], 1
	v_add_f64 v[17:18], v[17:18], -v[31:32]
	s_delay_alu instid0(VALU_DEP_3) | instskip(SKIP_1) | instid1(VALU_DEP_3)
	v_mul_f64 v[29:30], v[35:36], v[29:30]
	v_cvt_f64_i32_e32 v[35:36], v39
	v_add_f64 v[11:12], v[11:12], -v[17:18]
	s_delay_alu instid0(VALU_DEP_3) | instskip(NEXT) | instid1(VALU_DEP_3)
	v_add_f64 v[31:32], v[33:34], v[29:30]
	v_mul_f64 v[37:38], v[35:36], s[44:45]
	s_delay_alu instid0(VALU_DEP_3) | instskip(NEXT) | instid1(VALU_DEP_3)
	v_ldexp_f64 v[11:12], v[11:12], 1
	v_add_f64 v[17:18], v[31:32], -v[33:34]
	s_delay_alu instid0(VALU_DEP_3) | instskip(NEXT) | instid1(VALU_DEP_2)
	v_fma_f64 v[33:34], v[35:36], s[44:45], -v[37:38]
	v_add_f64 v[17:18], v[29:30], -v[17:18]
	s_delay_alu instid0(VALU_DEP_2) | instskip(NEXT) | instid1(VALU_DEP_2)
	v_fma_f64 v[29:30], v[35:36], s[46:47], v[33:34]
	v_add_f64 v[11:12], v[11:12], v[17:18]
	s_delay_alu instid0(VALU_DEP_2) | instskip(NEXT) | instid1(VALU_DEP_2)
	v_add_f64 v[17:18], v[37:38], v[29:30]
	v_add_f64 v[33:34], v[31:32], v[11:12]
	s_delay_alu instid0(VALU_DEP_2) | instskip(NEXT) | instid1(VALU_DEP_2)
	v_add_f64 v[37:38], v[17:18], -v[37:38]
	v_add_f64 v[35:36], v[17:18], v[33:34]
	v_add_f64 v[31:32], v[33:34], -v[31:32]
	s_delay_alu instid0(VALU_DEP_3) | instskip(NEXT) | instid1(VALU_DEP_3)
	v_add_f64 v[29:30], v[29:30], -v[37:38]
	v_add_f64 v[39:40], v[35:36], -v[17:18]
	s_delay_alu instid0(VALU_DEP_3) | instskip(NEXT) | instid1(VALU_DEP_2)
	v_add_f64 v[11:12], v[11:12], -v[31:32]
	v_add_f64 v[41:42], v[35:36], -v[39:40]
	;; [unrolled: 1-line block ×3, first 2 shown]
	s_delay_alu instid0(VALU_DEP_3) | instskip(NEXT) | instid1(VALU_DEP_3)
	v_add_f64 v[33:34], v[29:30], v[11:12]
	v_add_f64 v[17:18], v[17:18], -v[41:42]
	s_delay_alu instid0(VALU_DEP_1) | instskip(NEXT) | instid1(VALU_DEP_3)
	v_add_f64 v[17:18], v[31:32], v[17:18]
	v_add_f64 v[31:32], v[33:34], -v[29:30]
	s_delay_alu instid0(VALU_DEP_2) | instskip(NEXT) | instid1(VALU_DEP_2)
	v_add_f64 v[17:18], v[33:34], v[17:18]
	v_add_f64 v[33:34], v[33:34], -v[31:32]
	v_add_f64 v[11:12], v[11:12], -v[31:32]
	s_delay_alu instid0(VALU_DEP_3) | instskip(NEXT) | instid1(VALU_DEP_3)
	v_add_f64 v[37:38], v[35:36], v[17:18]
	v_add_f64 v[29:30], v[29:30], -v[33:34]
	s_delay_alu instid0(VALU_DEP_2) | instskip(NEXT) | instid1(VALU_DEP_2)
	v_add_f64 v[31:32], v[37:38], -v[35:36]
	v_add_f64 v[11:12], v[11:12], v[29:30]
	s_delay_alu instid0(VALU_DEP_2) | instskip(NEXT) | instid1(VALU_DEP_1)
	v_add_f64 v[17:18], v[17:18], -v[31:32]
	v_add_f64 v[11:12], v[11:12], v[17:18]
	s_delay_alu instid0(VALU_DEP_1) | instskip(NEXT) | instid1(VALU_DEP_1)
	v_add_f64 v[11:12], v[37:38], v[11:12]
	v_dual_cndmask_b32 v11, v11, v3 :: v_dual_cndmask_b32 v12, v12, v4
	v_cmp_ngt_f64_e32 vcc_lo, 0, v[3:4]
	s_delay_alu instid0(VALU_DEP_2) | instskip(SKIP_1) | instid1(VALU_DEP_4)
	v_cndmask_b32_e32 v12, 0x7ff80000, v12, vcc_lo
	v_cmp_nge_f64_e32 vcc_lo, 0, v[3:4]
	v_cndmask_b32_e32 v11, 0, v11, vcc_lo
	v_cmp_neq_f64_e32 vcc_lo, 0, v[3:4]
	s_delay_alu instid0(VALU_DEP_4) | instskip(NEXT) | instid1(VALU_DEP_1)
	v_cndmask_b32_e32 v12, 0xfff00000, v12, vcc_lo
	v_add_f64 v[3:4], v[11:12], -v[15:16]
	s_delay_alu instid0(VALU_DEP_1) | instskip(SKIP_1) | instid1(VALU_DEP_2)
	v_div_scale_f64 v[11:12], null, s[44:45], s[44:45], v[3:4]
	v_div_scale_f64 v[31:32], vcc_lo, v[3:4], s[44:45], v[3:4]
	v_rcp_f64_e32 v[17:18], v[11:12]
	s_waitcnt_depctr 0xfff
	v_fma_f64 v[29:30], -v[11:12], v[17:18], 1.0
	s_delay_alu instid0(VALU_DEP_1) | instskip(NEXT) | instid1(VALU_DEP_1)
	v_fma_f64 v[17:18], v[17:18], v[29:30], v[17:18]
	v_fma_f64 v[29:30], -v[11:12], v[17:18], 1.0
	s_delay_alu instid0(VALU_DEP_1) | instskip(NEXT) | instid1(VALU_DEP_1)
	v_fma_f64 v[17:18], v[17:18], v[29:30], v[17:18]
	v_mul_f64 v[29:30], v[31:32], v[17:18]
	s_delay_alu instid0(VALU_DEP_1) | instskip(SKIP_1) | instid1(VALU_DEP_2)
	v_fma_f64 v[11:12], -v[11:12], v[29:30], v[31:32]
	v_mov_b32_e32 v31, 1
	v_div_fmas_f64 v[11:12], v[11:12], v[17:18], v[29:30]
	v_mov_b32_e32 v30, 0
	s_delay_alu instid0(VALU_DEP_2) | instskip(NEXT) | instid1(VALU_DEP_1)
	v_div_fixup_f64 v[3:4], v[11:12], s[44:45], v[3:4]
	v_cvt_i32_f64_e32 v3, v[3:4]
	s_delay_alu instid0(VALU_DEP_1)
	v_dual_mov_b32 v4, v28 :: v_dual_add_nc_u32 v29, 2, v3
	s_and_saveexec_b32 s7, s1
	s_cbranch_execz .LBB7_31
; %bb.20:                               ;   in Loop: Header=BB7_4 Depth=1
	v_add_f64 v[11:12], v[9:10], -v[5:6]
	s_add_u32 s52, s70, s4
	s_addc_u32 s53, s71, s5
	s_cmp_gt_i32 s15, 1
	ds_store_b8 v22, v22 offset:6661
	s_cselect_b32 s39, -1, 0
	s_cmp_lt_i32 s15, 2
	v_cmp_ge_f64_e32 vcc_lo, s[18:19], v[11:12]
	v_cndmask_b32_e64 v3, 0, 1, vcc_lo
	s_cbranch_scc1 .LBB7_23
; %bb.21:                               ;   in Loop: Header=BB7_4 Depth=1
	v_cmp_gt_f64_e64 s3, v[11:12], -s[18:19]
	s_xor_b32 s41, s19, 0x80000000
	s_mov_b64 s[56:57], s[52:53]
	s_mov_b32 s51, s50
	s_delay_alu instid0(VALU_DEP_1)
	s_and_b32 s3, vcc_lo, s3
	s_add_u32 s54, s80, s4
	v_cndmask_b32_e64 v12, v12, s41, s3
	v_cndmask_b32_e64 v11, v11, s18, s3
	s_addc_u32 s55, s81, s5
	s_set_inst_prefetch_distance 0x1
	.p2align	6
.LBB7_22:                               ;   Parent Loop BB7_4 Depth=1
                                        ; =>  This Inner Loop Header: Depth=2
	s_clause 0x1
	global_load_b64 v[17:18], v22, s[56:57]
	global_load_b64 v[30:31], v22, s[54:55]
	s_add_i32 s51, s51, -1
	s_waitcnt vmcnt(1)
	v_div_scale_f64 v[32:33], null, v[11:12], v[11:12], v[17:18]
	v_div_scale_f64 v[38:39], vcc_lo, v[17:18], v[11:12], v[17:18]
	s_waitcnt vmcnt(0)
	v_add_f64 v[30:31], v[30:31], -v[5:6]
	s_delay_alu instid0(VALU_DEP_3) | instskip(SKIP_2) | instid1(VALU_DEP_1)
	v_rcp_f64_e32 v[34:35], v[32:33]
	s_waitcnt_depctr 0xfff
	v_fma_f64 v[36:37], -v[32:33], v[34:35], 1.0
	v_fma_f64 v[34:35], v[34:35], v[36:37], v[34:35]
	s_delay_alu instid0(VALU_DEP_1) | instskip(NEXT) | instid1(VALU_DEP_1)
	v_fma_f64 v[36:37], -v[32:33], v[34:35], 1.0
	v_fma_f64 v[34:35], v[34:35], v[36:37], v[34:35]
	s_delay_alu instid0(VALU_DEP_1) | instskip(NEXT) | instid1(VALU_DEP_1)
	v_mul_f64 v[36:37], v[38:39], v[34:35]
	v_fma_f64 v[32:33], -v[32:33], v[36:37], v[38:39]
	s_delay_alu instid0(VALU_DEP_1) | instskip(NEXT) | instid1(VALU_DEP_1)
	v_div_fmas_f64 v[32:33], v[32:33], v[34:35], v[36:37]
	v_div_fixup_f64 v[11:12], v[32:33], v[11:12], v[17:18]
	s_delay_alu instid0(VALU_DEP_1) | instskip(NEXT) | instid1(VALU_DEP_1)
	v_add_f64 v[11:12], v[30:31], -v[11:12]
	v_cmp_ge_f64_e32 vcc_lo, s[18:19], v[11:12]
	v_cmp_gt_f64_e64 s58, v[11:12], -s[18:19]
	v_add_co_ci_u32_e64 v3, s3, 0, v3, vcc_lo
	s_delay_alu instid0(VALU_DEP_2)
	s_and_b32 s3, vcc_lo, s58
	s_add_u32 s56, s56, 8
	v_cndmask_b32_e64 v12, v12, s41, s3
	v_cndmask_b32_e64 v11, v11, s18, s3
	s_addc_u32 s57, s57, 0
	s_add_u32 s54, s54, 8
	s_addc_u32 s55, s55, 0
	s_cmp_lg_u32 s51, 0
	s_cbranch_scc1 .LBB7_22
.LBB7_23:                               ;   in Loop: Header=BB7_4 Depth=1
	s_set_inst_prefetch_distance 0x2
	v_add_f64 v[9:10], v[9:10], -v[7:8]
	s_and_not1_b32 vcc_lo, exec_lo, s39
	s_delay_alu instid0(VALU_DEP_1) | instskip(NEXT) | instid1(VALU_DEP_1)
	v_cmp_ge_f64_e64 s3, s[18:19], v[9:10]
	v_cndmask_b32_e64 v4, 0, 1, s3
	s_cbranch_vccnz .LBB7_26
; %bb.24:                               ;   in Loop: Header=BB7_4 Depth=1
	v_cmp_gt_f64_e64 s41, v[9:10], -s[18:19]
	s_xor_b32 s39, s19, 0x80000000
	s_delay_alu instid0(VALU_DEP_1)
	s_and_b32 s3, s3, s41
	s_add_u32 s54, s80, s4
	v_cndmask_b32_e64 v10, v10, s39, s3
	v_cndmask_b32_e64 v9, v9, s18, s3
	s_addc_u32 s55, s81, s5
	s_mov_b32 s41, s50
	s_set_inst_prefetch_distance 0x1
	.p2align	6
.LBB7_25:                               ;   Parent Loop BB7_4 Depth=1
                                        ; =>  This Inner Loop Header: Depth=2
	s_clause 0x1
	global_load_b64 v[11:12], v22, s[52:53]
	global_load_b64 v[17:18], v22, s[54:55]
	s_add_i32 s41, s41, -1
	s_waitcnt vmcnt(1)
	v_div_scale_f64 v[30:31], null, v[9:10], v[9:10], v[11:12]
	v_div_scale_f64 v[36:37], vcc_lo, v[11:12], v[9:10], v[11:12]
	s_waitcnt vmcnt(0)
	v_add_f64 v[17:18], v[17:18], -v[7:8]
	s_delay_alu instid0(VALU_DEP_3) | instskip(SKIP_2) | instid1(VALU_DEP_1)
	v_rcp_f64_e32 v[32:33], v[30:31]
	s_waitcnt_depctr 0xfff
	v_fma_f64 v[34:35], -v[30:31], v[32:33], 1.0
	v_fma_f64 v[32:33], v[32:33], v[34:35], v[32:33]
	s_delay_alu instid0(VALU_DEP_1) | instskip(NEXT) | instid1(VALU_DEP_1)
	v_fma_f64 v[34:35], -v[30:31], v[32:33], 1.0
	v_fma_f64 v[32:33], v[32:33], v[34:35], v[32:33]
	s_delay_alu instid0(VALU_DEP_1) | instskip(NEXT) | instid1(VALU_DEP_1)
	v_mul_f64 v[34:35], v[36:37], v[32:33]
	v_fma_f64 v[30:31], -v[30:31], v[34:35], v[36:37]
	s_delay_alu instid0(VALU_DEP_1) | instskip(NEXT) | instid1(VALU_DEP_1)
	v_div_fmas_f64 v[30:31], v[30:31], v[32:33], v[34:35]
	v_div_fixup_f64 v[9:10], v[30:31], v[9:10], v[11:12]
	s_delay_alu instid0(VALU_DEP_1) | instskip(NEXT) | instid1(VALU_DEP_1)
	v_add_f64 v[9:10], v[17:18], -v[9:10]
	v_cmp_ge_f64_e32 vcc_lo, s[18:19], v[9:10]
	v_cmp_gt_f64_e64 s51, v[9:10], -s[18:19]
	v_add_co_ci_u32_e64 v4, s3, 0, v4, vcc_lo
	s_delay_alu instid0(VALU_DEP_2)
	s_and_b32 s3, vcc_lo, s51
	s_add_u32 s52, s52, 8
	v_cndmask_b32_e64 v10, v10, s39, s3
	v_cndmask_b32_e64 v9, v9, s18, s3
	s_addc_u32 s53, s53, 0
	s_add_u32 s54, s54, 8
	s_addc_u32 s55, s55, 0
	s_cmp_lg_u32 s41, 0
	s_cbranch_scc1 .LBB7_25
.LBB7_26:                               ;   in Loop: Header=BB7_4 Depth=1
	s_set_inst_prefetch_distance 0x2
	s_delay_alu instid0(VALU_DEP_1) | instskip(NEXT) | instid1(VALU_DEP_1)
	v_sub_nc_u32_e32 v9, v4, v3
	v_cmp_gt_i32_e32 vcc_lo, 1, v9
	s_cbranch_vccz .LBB7_28
; %bb.27:                               ;   in Loop: Header=BB7_4 Depth=1
	s_add_u32 s52, s76, s42
	s_addc_u32 s53, s77, s43
	s_mov_b32 s3, 1
	s_mov_b32 s39, 0
	ds_store_b8 v22, v22 offset:6660
	global_store_b32 v22, v22, s[52:53]
	s_cbranch_execz .LBB7_29
	s_branch .LBB7_30
.LBB7_28:                               ;   in Loop: Header=BB7_4 Depth=1
                                        ; implicit-def: $sgpr39
                                        ; implicit-def: $sgpr3
.LBB7_29:                               ;   in Loop: Header=BB7_4 Depth=1
	s_add_i32 s3, s38, s13
	s_mov_b32 s39, 0
	s_lshl_b32 s52, s3, 1
	s_mov_b32 s3, 1
	s_ashr_i32 s53, s52, 31
	ds_store_b8 v22, v23 offset:6660
	s_lshl_b64 s[54:55], s[52:53], 3
	s_delay_alu instid0(SALU_CYCLE_1)
	s_add_u32 s54, s72, s54
	s_addc_u32 s55, s73, s55
	s_add_u32 s56, s76, s42
	s_addc_u32 s57, s77, s43
	s_lshl_b64 s[52:53], s[52:53], 2
	s_clause 0x1
	global_store_b128 v22, v[5:8], s[54:55]
	global_store_b32 v22, v9, s[56:57]
	s_add_u32 s52, s74, s52
	s_addc_u32 s53, s75, s53
	global_store_b64 v22, v[3:4], s[52:53]
.LBB7_30:                               ;   in Loop: Header=BB7_4 Depth=1
	v_dual_mov_b32 v30, s39 :: v_dual_mov_b32 v31, s3
.LBB7_31:                               ;   in Loop: Header=BB7_4 Depth=1
	s_or_b32 exec_lo, exec_lo, s7
.LBB7_32:                               ;   in Loop: Header=BB7_4 Depth=1
	s_waitcnt lgkmcnt(0)
	s_waitcnt_vscnt null, 0x0
	s_barrier
	buffer_gl0_inv
	ds_load_u8 v3, v22 offset:6660
	s_mov_b32 s3, 0
	s_waitcnt lgkmcnt(0)
	v_cmp_eq_u32_e32 vcc_lo, 0, v3
	s_cbranch_vccnz .LBB7_71
; %bb.33:                               ;   in Loop: Header=BB7_4 Depth=1
	ds_load_u8 v3, v22 offset:6661
	v_cmp_lt_i32_e32 vcc_lo, v30, v29
	v_mov_b32_e32 v32, v25
	s_waitcnt lgkmcnt(0)
	v_readfirstlane_b32 s3, v3
	s_delay_alu instid0(VALU_DEP_1) | instskip(SKIP_1) | instid1(SALU_CYCLE_1)
	s_bitcmp1_b32 s3, 0
	s_cselect_b32 s3, -1, 0
	s_xor_b32 s7, s3, -1
	s_mov_b32 s3, -1
	s_and_b32 s39, s7, vcc_lo
	s_delay_alu instid0(SALU_CYCLE_1)
	s_and_saveexec_b32 s7, s39
	s_cbranch_execz .LBB7_73
; %bb.34:                               ;   in Loop: Header=BB7_4 Depth=1
	v_cndmask_b32_e64 v2, s37, v2, s0
	v_cndmask_b32_e64 v1, s36, v1, s0
	s_add_i32 s3, s38, s13
                                        ; implicit-def: $sgpr51
	s_delay_alu instid0(SALU_CYCLE_1) | instskip(SKIP_1) | instid1(VALU_DEP_1)
	s_lshl_b32 s39, s3, 1
	s_cmp_gt_i32 s15, 1
	v_cmp_gt_f64_e32 vcc_lo, s[18:19], v[1:2]
	s_cselect_b32 s15, -1, 0
	s_lshl_b32 s41, s38, 1
	s_add_u32 s52, s70, s4
	s_addc_u32 s53, s71, s5
	s_add_u32 s54, s80, s4
	s_addc_u32 s55, s81, s5
	s_mov_b32 s5, 0
	v_cndmask_b32_e64 v18, v2, s19, vcc_lo
	v_cndmask_b32_e64 v17, v1, s18, vcc_lo
	s_branch .LBB7_37
.LBB7_35:                               ;   in Loop: Header=BB7_37 Depth=2
	ds_load_u8 v1, v22 offset:6661
	v_cmp_ge_i32_e64 s3, v30, v29
	s_waitcnt lgkmcnt(0)
	v_and_b32_e32 v1, 1, v1
	s_delay_alu instid0(VALU_DEP_1) | instskip(NEXT) | instid1(VALU_DEP_3)
	v_cmp_eq_u32_e32 vcc_lo, 1, v1
	s_or_b32 s4, vcc_lo, s3
	s_mov_b32 s3, -1
	s_or_not1_b32 s4, s4, exec_lo
.LBB7_36:                               ;   in Loop: Header=BB7_37 Depth=2
	s_delay_alu instid0(SALU_CYCLE_1) | instskip(NEXT) | instid1(SALU_CYCLE_1)
	s_and_b32 s4, exec_lo, s4
	s_or_b32 s5, s4, s5
	s_and_not1_b32 s4, s51, exec_lo
	s_and_b32 s3, s3, exec_lo
	s_delay_alu instid0(SALU_CYCLE_1)
	s_or_b32 s51, s4, s3
	s_and_not1_b32 exec_lo, exec_lo, s5
	s_cbranch_execz .LBB7_72
.LBB7_37:                               ;   Parent Loop BB7_4 Depth=1
                                        ; =>  This Loop Header: Depth=2
                                        ;       Child Loop BB7_42 Depth 3
                                        ;         Child Loop BB7_45 Depth 4
                                        ;         Child Loop BB7_58 Depth 4
	s_and_saveexec_b32 s3, s1
	s_cbranch_execz .LBB7_39
; %bb.38:                               ;   in Loop: Header=BB7_37 Depth=2
	ds_store_b32 v22, v22 offset:6656
.LBB7_39:                               ;   in Loop: Header=BB7_37 Depth=2
	s_or_b32 exec_lo, exec_lo, s3
	v_dual_mov_b32 v2, s41 :: v_dual_and_b32 v1, 1, v30
	s_mov_b32 s84, exec_lo
	s_delay_alu instid0(VALU_DEP_1) | instskip(NEXT) | instid1(VALU_DEP_2)
	v_cmp_eq_u32_e32 vcc_lo, 0, v1
	v_cndmask_b32_e32 v32, s39, v2, vcc_lo
	v_cmpx_lt_i32_e32 0, v31
	s_cbranch_execz .LBB7_66
; %bb.40:                               ;   in Loop: Header=BB7_37 Depth=2
	v_mov_b32_e32 v1, s39
	s_mov_b32 s85, 0
	s_mov_b32 s86, 0
	s_delay_alu instid0(VALU_DEP_1)
	v_cndmask_b32_e32 v33, s41, v1, vcc_lo
	s_branch .LBB7_42
.LBB7_41:                               ;   in Loop: Header=BB7_42 Depth=3
	s_or_b32 exec_lo, exec_lo, s3
	s_addk_i32 s86, 0x80
	s_waitcnt lgkmcnt(0)
	v_cmp_ge_i32_e32 vcc_lo, s86, v31
	s_barrier
	buffer_gl0_inv
	s_or_b32 s85, vcc_lo, s85
	s_delay_alu instid0(SALU_CYCLE_1)
	s_and_not1_b32 exec_lo, exec_lo, s85
	s_cbranch_execz .LBB7_65
.LBB7_42:                               ;   Parent Loop BB7_4 Depth=1
                                        ;     Parent Loop BB7_37 Depth=2
                                        ; =>    This Loop Header: Depth=3
                                        ;         Child Loop BB7_45 Depth 4
                                        ;         Child Loop BB7_58 Depth 4
	v_add_nc_u32_e32 v1, s86, v0
	s_delay_alu instid0(VALU_DEP_1) | instskip(NEXT) | instid1(VALU_DEP_1)
	v_cmp_lt_i32_e64 s3, v1, v31
	s_and_saveexec_b32 s87, s3
	s_cbranch_execz .LBB7_55
; %bb.43:                               ;   in Loop: Header=BB7_42 Depth=3
	v_lshl_add_u32 v1, v1, 1, v33
	s_delay_alu instid0(VALU_DEP_1) | instskip(NEXT) | instid1(VALU_DEP_1)
	v_ashrrev_i32_e32 v2, 31, v1
	v_lshlrev_b64 v[3:4], 3, v[1:2]
	v_lshlrev_b64 v[1:2], 2, v[1:2]
	s_delay_alu instid0(VALU_DEP_2) | instskip(NEXT) | instid1(VALU_DEP_3)
	v_add_co_u32 v3, vcc_lo, s72, v3
	v_add_co_ci_u32_e32 v4, vcc_lo, s73, v4, vcc_lo
	s_delay_alu instid0(VALU_DEP_3) | instskip(NEXT) | instid1(VALU_DEP_4)
	v_add_co_u32 v1, vcc_lo, s74, v1
	v_add_co_ci_u32_e32 v2, vcc_lo, s75, v2, vcc_lo
	global_load_b128 v[5:8], v[3:4], off
	global_load_b64 v[9:10], v22, s[48:49]
	s_and_not1_b32 vcc_lo, exec_lo, s15
	global_load_b64 v[3:4], v[1:2], off
	s_waitcnt vmcnt(2)
	v_add_f64 v[11:12], v[5:6], v[7:8]
	s_waitcnt vmcnt(1)
	s_delay_alu instid0(VALU_DEP_1) | instskip(SKIP_1) | instid1(VALU_DEP_2)
	v_fma_f64 v[1:2], v[11:12], -0.5, v[9:10]
	v_mul_f64 v[9:10], v[11:12], 0.5
	v_cmp_ge_f64_e64 s4, s[18:19], v[1:2]
	s_delay_alu instid0(VALU_DEP_1)
	v_cndmask_b32_e64 v11, 0, 1, s4
	s_cbranch_vccnz .LBB7_46
; %bb.44:                               ;   in Loop: Header=BB7_42 Depth=3
	v_cmp_gt_f64_e64 s56, v[1:2], -s[18:19]
	s_xor_b32 s88, s19, 0x80000000
	s_mov_b64 s[58:59], s[52:53]
	s_mov_b32 s89, s50
	s_delay_alu instid0(VALU_DEP_1)
	s_and_b32 s4, s4, s56
	s_mov_b64 s[56:57], s[54:55]
	v_cndmask_b32_e64 v2, v2, s88, s4
	v_cndmask_b32_e64 v1, v1, s18, s4
	s_set_inst_prefetch_distance 0x1
	.p2align	6
.LBB7_45:                               ;   Parent Loop BB7_4 Depth=1
                                        ;     Parent Loop BB7_37 Depth=2
                                        ;       Parent Loop BB7_42 Depth=3
                                        ; =>      This Inner Loop Header: Depth=4
	s_clause 0x1
	global_load_b64 v[34:35], v22, s[58:59]
	global_load_b64 v[36:37], v22, s[56:57]
	s_add_i32 s89, s89, -1
	s_waitcnt vmcnt(1)
	v_div_scale_f64 v[38:39], null, v[1:2], v[1:2], v[34:35]
	v_div_scale_f64 v[44:45], vcc_lo, v[34:35], v[1:2], v[34:35]
	s_waitcnt vmcnt(0)
	v_add_f64 v[36:37], v[36:37], -v[9:10]
	s_delay_alu instid0(VALU_DEP_3) | instskip(SKIP_2) | instid1(VALU_DEP_1)
	v_rcp_f64_e32 v[40:41], v[38:39]
	s_waitcnt_depctr 0xfff
	v_fma_f64 v[42:43], -v[38:39], v[40:41], 1.0
	v_fma_f64 v[40:41], v[40:41], v[42:43], v[40:41]
	s_delay_alu instid0(VALU_DEP_1) | instskip(NEXT) | instid1(VALU_DEP_1)
	v_fma_f64 v[42:43], -v[38:39], v[40:41], 1.0
	v_fma_f64 v[40:41], v[40:41], v[42:43], v[40:41]
	s_delay_alu instid0(VALU_DEP_1) | instskip(NEXT) | instid1(VALU_DEP_1)
	v_mul_f64 v[42:43], v[44:45], v[40:41]
	v_fma_f64 v[38:39], -v[38:39], v[42:43], v[44:45]
	s_delay_alu instid0(VALU_DEP_1) | instskip(NEXT) | instid1(VALU_DEP_1)
	v_div_fmas_f64 v[38:39], v[38:39], v[40:41], v[42:43]
	v_div_fixup_f64 v[1:2], v[38:39], v[1:2], v[34:35]
	s_delay_alu instid0(VALU_DEP_1) | instskip(NEXT) | instid1(VALU_DEP_1)
	v_add_f64 v[1:2], v[36:37], -v[1:2]
	v_cmp_ge_f64_e32 vcc_lo, s[18:19], v[1:2]
	v_cmp_gt_f64_e64 s90, v[1:2], -s[18:19]
	v_add_co_ci_u32_e64 v11, s4, 0, v11, vcc_lo
	s_delay_alu instid0(VALU_DEP_2)
	s_and_b32 s4, vcc_lo, s90
	s_add_u32 s58, s58, 8
	v_cndmask_b32_e64 v2, v2, s88, s4
	v_cndmask_b32_e64 v1, v1, s18, s4
	s_addc_u32 s59, s59, 0
	s_add_u32 s56, s56, 8
	s_addc_u32 s57, s57, 0
	s_cmp_lg_u32 s89, 0
	s_cbranch_scc1 .LBB7_45
.LBB7_46:                               ;   in Loop: Header=BB7_42 Depth=3
	s_set_inst_prefetch_distance 0x2
	s_waitcnt vmcnt(0)
	s_delay_alu instid0(VALU_DEP_1) | instskip(SKIP_1) | instid1(VALU_DEP_1)
	v_max_i32_e32 v1, v11, v3
	s_mov_b32 s4, exec_lo
	v_min_i32_e32 v2, v1, v4
	s_delay_alu instid0(VALU_DEP_1)
	v_cmpx_ne_u32_e64 v2, v3
	s_xor_b32 s4, exec_lo, s4
	s_cbranch_execz .LBB7_52
; %bb.47:                               ;   in Loop: Header=BB7_42 Depth=3
	s_mov_b32 s56, exec_lo
	v_cmpx_le_i32_e64 v4, v1
	s_xor_b32 s56, exec_lo, s56
	s_cbranch_execz .LBB7_49
; %bb.48:                               ;   in Loop: Header=BB7_42 Depth=3
	v_dual_mov_b32 v7, v9 :: v_dual_mov_b32 v8, v10
	v_mov_b32_e32 v1, v3
                                        ; implicit-def: $vgpr9_vgpr10
	ds_store_b32 v19, v22
	ds_store_b128 v20, v[5:8]
	ds_store_b64 v21, v[1:2]
                                        ; implicit-def: $vgpr5_vgpr6
.LBB7_49:                               ;   in Loop: Header=BB7_42 Depth=3
	s_and_not1_saveexec_b32 s56, s56
	s_cbranch_execz .LBB7_51
; %bb.50:                               ;   in Loop: Header=BB7_42 Depth=3
	v_dual_mov_b32 v34, v5 :: v_dual_mov_b32 v35, v6
	v_dual_mov_b32 v36, v9 :: v_dual_mov_b32 v37, v10
	;; [unrolled: 1-line block ×3, first 2 shown]
	v_mov_b32_e32 v1, v3
	v_mov_b32_e32 v3, v2
	ds_store_b32 v19, v23
	ds_store_b128 v20, v[34:37]
	ds_store_b128 v20, v[9:12] offset:16
	ds_store_b128 v21, v[1:4]
.LBB7_51:                               ;   in Loop: Header=BB7_42 Depth=3
	s_or_b32 exec_lo, exec_lo, s56
                                        ; implicit-def: $vgpr9_vgpr10
                                        ; implicit-def: $vgpr7_vgpr8
.LBB7_52:                               ;   in Loop: Header=BB7_42 Depth=3
	s_and_not1_saveexec_b32 s4, s4
	s_cbranch_execz .LBB7_54
; %bb.53:                               ;   in Loop: Header=BB7_42 Depth=3
	v_dual_mov_b32 v11, v7 :: v_dual_mov_b32 v12, v8
	ds_store_b32 v19, v22
	ds_store_b128 v20, v[9:12]
	ds_store_b64 v21, v[3:4]
.LBB7_54:                               ;   in Loop: Header=BB7_42 Depth=3
	s_or_b32 exec_lo, exec_lo, s4
.LBB7_55:                               ;   in Loop: Header=BB7_42 Depth=3
	s_delay_alu instid0(SALU_CYCLE_1)
	s_or_b32 exec_lo, exec_lo, s87
	s_waitcnt lgkmcnt(0)
	s_barrier
	buffer_gl0_inv
	s_and_saveexec_b32 s4, s3
	s_cbranch_execz .LBB7_63
; %bb.56:                               ;   in Loop: Header=BB7_42 Depth=3
	v_mov_b32_e32 v4, 0
	s_and_saveexec_b32 s3, s2
	s_cbranch_execz .LBB7_60
; %bb.57:                               ;   in Loop: Header=BB7_42 Depth=3
	v_dual_mov_b32 v4, 0 :: v_dual_mov_b32 v1, v0
	s_movk_i32 s57, 0x1800
	s_mov_b32 s56, 0
.LBB7_58:                               ;   Parent Loop BB7_4 Depth=1
                                        ;     Parent Loop BB7_37 Depth=2
                                        ;       Parent Loop BB7_42 Depth=3
                                        ; =>      This Inner Loop Header: Depth=4
	s_delay_alu instid0(VALU_DEP_1)
	v_dual_mov_b32 v2, s57 :: v_dual_add_nc_u32 v1, -1, v1
	s_add_i32 s57, s57, 4
	ds_load_b32 v2, v2
	v_cmp_eq_u32_e32 vcc_lo, 0, v1
	s_or_b32 s56, vcc_lo, s56
	s_waitcnt lgkmcnt(0)
	v_add_nc_u32_e32 v4, v2, v4
	s_and_not1_b32 exec_lo, exec_lo, s56
	s_cbranch_execnz .LBB7_58
; %bb.59:                               ;   in Loop: Header=BB7_42 Depth=3
	s_or_b32 exec_lo, exec_lo, s56
.LBB7_60:                               ;   in Loop: Header=BB7_42 Depth=3
	s_delay_alu instid0(SALU_CYCLE_1)
	s_or_b32 exec_lo, exec_lo, s3
	ds_load_b32 v1, v22 offset:6656
	ds_load_b64 v[11:12], v21
	ds_load_b32 v3, v19
	ds_load_b128 v[7:10], v20
	s_mov_b32 s3, exec_lo
	s_waitcnt lgkmcnt(3)
	v_add3_u32 v1, v4, v0, v1
	s_delay_alu instid0(VALU_DEP_1) | instskip(NEXT) | instid1(VALU_DEP_1)
	v_lshl_add_u32 v1, v1, 1, v32
	v_ashrrev_i32_e32 v2, 31, v1
	s_delay_alu instid0(VALU_DEP_1) | instskip(SKIP_1) | instid1(VALU_DEP_2)
	v_lshlrev_b64 v[5:6], 3, v[1:2]
	v_lshlrev_b64 v[34:35], 2, v[1:2]
	v_add_co_u32 v1, vcc_lo, s72, v5
	s_delay_alu instid0(VALU_DEP_3) | instskip(NEXT) | instid1(VALU_DEP_3)
	v_add_co_ci_u32_e32 v2, vcc_lo, s73, v6, vcc_lo
	v_add_co_u32 v5, vcc_lo, s74, v34
	s_delay_alu instid0(VALU_DEP_4)
	v_add_co_ci_u32_e32 v6, vcc_lo, s75, v35, vcc_lo
	s_waitcnt lgkmcnt(0)
	global_store_b128 v[1:2], v[7:10], off
	global_store_b64 v[5:6], v[11:12], off
	v_cmpx_ne_u32_e32 0, v3
	s_cbranch_execz .LBB7_62
; %bb.61:                               ;   in Loop: Header=BB7_42 Depth=3
	ds_load_b128 v[7:10], v20 offset:16
	ds_load_b64 v[11:12], v21 offset:8
	s_waitcnt lgkmcnt(1)
	global_store_b128 v[1:2], v[7:10], off offset:16
	s_waitcnt lgkmcnt(0)
	global_store_b64 v[5:6], v[11:12], off offset:8
.LBB7_62:                               ;   in Loop: Header=BB7_42 Depth=3
	s_or_b32 exec_lo, exec_lo, s3
.LBB7_63:                               ;   in Loop: Header=BB7_42 Depth=3
	s_delay_alu instid0(SALU_CYCLE_1)
	s_or_b32 exec_lo, exec_lo, s4
	v_subrev_nc_u32_e32 v1, s86, v31
	s_mov_b32 s3, exec_lo
	s_waitcnt_vscnt null, 0x0
	s_barrier
	buffer_gl0_inv
	v_min_i32_e32 v1, 0x80, v1
	s_delay_alu instid0(VALU_DEP_1) | instskip(NEXT) | instid1(VALU_DEP_1)
	v_add_nc_u32_e32 v2, -1, v1
	v_cmpx_eq_u32_e64 v2, v0
	s_cbranch_execz .LBB7_41
; %bb.64:                               ;   in Loop: Header=BB7_42 Depth=3
	ds_load_b32 v2, v19
	ds_load_b32 v3, v22 offset:6656
	v_add_nc_u32_e32 v1, v4, v1
	s_waitcnt lgkmcnt(0)
	s_delay_alu instid0(VALU_DEP_1)
	v_add3_u32 v1, v1, v2, v3
	ds_store_b32 v22, v1 offset:6656
	s_branch .LBB7_41
.LBB7_65:                               ;   in Loop: Header=BB7_37 Depth=2
	s_or_b32 exec_lo, exec_lo, s85
.LBB7_66:                               ;   in Loop: Header=BB7_37 Depth=2
	s_delay_alu instid0(SALU_CYCLE_1)
	s_or_b32 exec_lo, exec_lo, s84
	ds_load_b32 v31, v22 offset:6656
	s_and_saveexec_b32 s3, s1
	s_cbranch_execz .LBB7_69
; %bb.67:                               ;   in Loop: Header=BB7_37 Depth=2
	ds_load_b128 v[5:8], v22
	s_waitcnt lgkmcnt(0)
	v_cmp_lt_f64_e64 vcc_lo, |v[5:6]|, |v[7:8]|
	v_dual_cndmask_b32 v2, v6, v8 :: v_dual_cndmask_b32 v1, v5, v7
	v_add_f64 v[5:6], v[7:8], -v[5:6]
	s_delay_alu instid0(VALU_DEP_2) | instskip(NEXT) | instid1(VALU_DEP_1)
	v_mul_f64 v[1:2], v[13:14], |v[1:2]|
	v_cmp_lt_f64_e32 vcc_lo, v[17:18], v[1:2]
	v_dual_cndmask_b32 v2, v18, v2 :: v_dual_cndmask_b32 v1, v17, v1
	s_delay_alu instid0(VALU_DEP_1)
	v_cmp_nlt_f64_e32 vcc_lo, v[5:6], v[1:2]
	s_cbranch_vccnz .LBB7_69
; %bb.68:                               ;   in Loop: Header=BB7_37 Depth=2
	ds_store_b8 v22, v23 offset:6661
.LBB7_69:                               ;   in Loop: Header=BB7_37 Depth=2
	s_or_b32 exec_lo, exec_lo, s3
	s_waitcnt lgkmcnt(0)
	s_barrier
	buffer_gl0_inv
	ds_load_u8 v1, v22 offset:6660
	v_add_nc_u32_e32 v30, 1, v30
	s_waitcnt lgkmcnt(0)
	v_and_b32_e32 v1, 1, v1
	s_delay_alu instid0(VALU_DEP_1)
	v_cmp_eq_u32_e32 vcc_lo, 1, v1
	s_cbranch_vccnz .LBB7_35
; %bb.70:                               ;   in Loop: Header=BB7_37 Depth=2
	s_mov_b32 s4, -1
	s_mov_b32 s3, 0
	s_branch .LBB7_36
.LBB7_71:                               ;   in Loop: Header=BB7_4 Depth=1
	v_mov_b32_e32 v32, v25
	s_and_saveexec_b32 s4, s1
	s_cbranch_execnz .LBB7_74
	s_branch .LBB7_88
.LBB7_72:                               ;   in Loop: Header=BB7_4 Depth=1
	s_or_b32 exec_lo, exec_lo, s5
	s_delay_alu instid0(SALU_CYCLE_1)
	s_or_not1_b32 s3, s51, exec_lo
.LBB7_73:                               ;   in Loop: Header=BB7_4 Depth=1
	s_or_b32 exec_lo, exec_lo, s7
	s_and_saveexec_b32 s4, s1
	s_cbranch_execz .LBB7_88
.LBB7_74:                               ;   in Loop: Header=BB7_4 Depth=1
	s_and_saveexec_b32 s5, s3
	s_cbranch_execz .LBB7_87
; %bb.75:                               ;   in Loop: Header=BB7_4 Depth=1
	ds_load_u8 v1, v22 offset:6661
	s_mov_b32 s15, exec_lo
	s_waitcnt lgkmcnt(0)
	v_readfirstlane_b32 s3, v1
	s_delay_alu instid0(VALU_DEP_1)
	s_bitcmp1_b32 s3, 0
	s_cselect_b32 s7, -1, 0
	v_cmpx_lt_i32_e32 0, v31
	s_cbranch_execz .LBB7_84
; %bb.76:                               ;   in Loop: Header=BB7_4 Depth=1
	v_mov_b32_e32 v9, 0
	s_add_i32 s3, s14, 1
	s_not_b32 s39, s14
	s_and_b32 s41, s7, exec_lo
	s_cselect_b32 s41, s3, s39
	s_mov_b32 s39, 0
	s_mov_b32 s48, 0
.LBB7_77:                               ;   Parent Loop BB7_4 Depth=1
                                        ; =>  This Loop Header: Depth=2
                                        ;       Child Loop BB7_79 Depth 3
	s_delay_alu instid0(SALU_CYCLE_1) | instskip(SKIP_1) | instid1(VALU_DEP_1)
	v_lshl_add_u32 v1, s48, 1, v32
	s_mov_b32 s49, exec_lo
	v_ashrrev_i32_e32 v2, 31, v1
	s_delay_alu instid0(VALU_DEP_1) | instskip(NEXT) | instid1(VALU_DEP_1)
	v_lshlrev_b64 v[3:4], 2, v[1:2]
	v_add_co_u32 v3, vcc_lo, s74, v3
	s_delay_alu instid0(VALU_DEP_2) | instskip(SKIP_3) | instid1(VALU_DEP_1)
	v_add_co_ci_u32_e32 v4, vcc_lo, s75, v4, vcc_lo
	global_load_b64 v[3:4], v[3:4], off
	s_waitcnt vmcnt(0)
	v_sub_nc_u32_e32 v3, v4, v3
	v_cmpx_lt_i32_e32 0, v3
	s_cbranch_execz .LBB7_81
; %bb.78:                               ;   in Loop: Header=BB7_77 Depth=2
	v_lshlrev_b64 v[1:2], 3, v[1:2]
	s_mov_b32 s50, 0
	s_mov_b32 s51, 0
	s_delay_alu instid0(VALU_DEP_1) | instskip(NEXT) | instid1(VALU_DEP_2)
	v_add_co_u32 v1, vcc_lo, s72, v1
	v_add_co_ci_u32_e32 v2, vcc_lo, s73, v2, vcc_lo
	global_load_b128 v[5:8], v[1:2], off
	s_waitcnt vmcnt(0)
	v_add_f64 v[1:2], v[5:6], v[7:8]
	v_add_nc_u32_e32 v5, s38, v9
	s_delay_alu instid0(VALU_DEP_1) | instskip(NEXT) | instid1(VALU_DEP_1)
	v_ashrrev_i32_e32 v6, 31, v5
	v_lshlrev_b64 v[7:8], 3, v[5:6]
	v_lshlrev_b64 v[10:11], 2, v[5:6]
	s_delay_alu instid0(VALU_DEP_2) | instskip(NEXT) | instid1(VALU_DEP_3)
	v_add_co_u32 v5, vcc_lo, s64, v7
	v_add_co_ci_u32_e32 v6, vcc_lo, s65, v8, vcc_lo
	s_delay_alu instid0(VALU_DEP_3) | instskip(NEXT) | instid1(VALU_DEP_4)
	v_add_co_u32 v7, vcc_lo, s66, v10
	v_add_co_ci_u32_e32 v8, vcc_lo, s67, v11, vcc_lo
	v_mul_f64 v[1:2], v[1:2], 0.5
	.p2align	6
.LBB7_79:                               ;   Parent Loop BB7_4 Depth=1
                                        ;     Parent Loop BB7_77 Depth=2
                                        ; =>    This Inner Loop Header: Depth=3
	s_add_i32 s51, s51, 1
	s_delay_alu instid0(SALU_CYCLE_1)
	v_dual_mov_b32 v11, s41 :: v_dual_add_nc_u32 v10, s51, v9
	global_store_b64 v[5:6], v[1:2], off
	v_add_co_u32 v5, vcc_lo, v5, 8
	v_add_co_ci_u32_e32 v6, vcc_lo, 0, v6, vcc_lo
	v_cmp_ge_i32_e32 vcc_lo, s51, v3
	global_store_b32 v[7:8], v11, off
	v_add_co_u32 v7, s3, v7, 4
	s_delay_alu instid0(VALU_DEP_1) | instskip(SKIP_1) | instid1(SALU_CYCLE_1)
	v_add_co_ci_u32_e64 v8, s3, 0, v8, s3
	s_or_b32 s50, vcc_lo, s50
	s_and_not1_b32 exec_lo, exec_lo, s50
	s_cbranch_execnz .LBB7_79
; %bb.80:                               ;   in Loop: Header=BB7_77 Depth=2
	s_or_b32 exec_lo, exec_lo, s50
	v_mov_b32_e32 v9, v10
.LBB7_81:                               ;   in Loop: Header=BB7_77 Depth=2
	s_or_b32 exec_lo, exec_lo, s49
; %bb.82:                               ;   in Loop: Header=BB7_77 Depth=2
	s_add_i32 s48, s48, 1
	s_delay_alu instid0(SALU_CYCLE_1) | instskip(SKIP_1) | instid1(SALU_CYCLE_1)
	v_cmp_eq_u32_e32 vcc_lo, s48, v31
	s_or_b32 s39, vcc_lo, s39
	s_and_not1_b32 exec_lo, exec_lo, s39
	s_cbranch_execnz .LBB7_77
; %bb.83:                               ;   in Loop: Header=BB7_4 Depth=1
	s_or_b32 exec_lo, exec_lo, s39
.LBB7_84:                               ;   in Loop: Header=BB7_4 Depth=1
	s_delay_alu instid0(SALU_CYCLE_1)
	s_or_b32 exec_lo, exec_lo, s15
	s_xor_b32 s3, s7, -1
; %bb.85:                               ;   in Loop: Header=BB7_4 Depth=1
	s_delay_alu instid0(SALU_CYCLE_1)
	s_and_b32 vcc_lo, exec_lo, s3
	s_cbranch_vccz .LBB7_87
; %bb.86:                               ;   in Loop: Header=BB7_4 Depth=1
	global_store_b32 v22, v23, s[10:11]
.LBB7_87:                               ;   in Loop: Header=BB7_4 Depth=1
	s_or_b32 exec_lo, exec_lo, s5
.LBB7_88:                               ;   in Loop: Header=BB7_4 Depth=1
	s_delay_alu instid0(SALU_CYCLE_1)
	s_or_b32 exec_lo, exec_lo, s4
	s_branch .LBB7_3
.LBB7_89:                               ;   in Loop: Header=BB7_4 Depth=1
	s_and_saveexec_b32 s3, s1
	s_cbranch_execz .LBB7_2
; %bb.90:                               ;   in Loop: Header=BB7_4 Depth=1
	s_ashr_i32 s39, s38, 31
	s_delay_alu instid0(SALU_CYCLE_1) | instskip(NEXT) | instid1(SALU_CYCLE_1)
	s_lshl_b64 s[4:5], s[38:39], 3
	s_add_u32 s48, s60, s4
	s_addc_u32 s49, s61, s5
	s_and_not1_b32 vcc_lo, exec_lo, s12
	global_load_b64 v[1:2], v22, s[48:49]
	s_cbranch_vccnz .LBB7_94
; %bb.91:                               ;   in Loop: Header=BB7_4 Depth=1
	global_load_b64 v[5:6], v22, s[16:17]
	s_waitcnt vmcnt(1)
	v_add_f64 v[3:4], v[1:2], -s[18:19]
	s_mov_b32 s7, 0
	s_waitcnt vmcnt(0)
	s_delay_alu instid0(VALU_DEP_1)
	v_cmp_lt_f64_e32 vcc_lo, v[5:6], v[3:4]
	v_cmp_nlt_f64_e64 s15, v[5:6], v[3:4]
	s_cbranch_vccnz .LBB7_95
; %bb.92:                               ;   in Loop: Header=BB7_4 Depth=1
	s_delay_alu instid0(VALU_DEP_1)
	s_and_not1_b32 vcc_lo, exec_lo, s15
	s_cbranch_vccz .LBB7_96
.LBB7_93:                               ;   in Loop: Header=BB7_4 Depth=1
	s_and_b32 vcc_lo, exec_lo, s7
	s_cbranch_vccz .LBB7_2
	s_branch .LBB7_97
.LBB7_94:                               ;   in Loop: Header=BB7_4 Depth=1
	s_cbranch_execz .LBB7_2
	s_branch .LBB7_97
.LBB7_95:                               ;   in Loop: Header=BB7_4 Depth=1
	global_load_b64 v[5:6], v22, s[16:17] offset:8
	s_mov_b32 s7, -1
	s_waitcnt vmcnt(0)
	v_cmp_nge_f64_e64 s15, v[5:6], v[3:4]
	s_delay_alu instid0(VALU_DEP_1)
	s_and_not1_b32 vcc_lo, exec_lo, s15
	s_cbranch_vccnz .LBB7_93
.LBB7_96:                               ;   in Loop: Header=BB7_4 Depth=1
	s_add_u32 s48, s76, s42
	s_addc_u32 s49, s77, s43
	global_store_b32 v22, v22, s[48:49]
	s_branch .LBB7_2
.LBB7_97:                               ;   in Loop: Header=BB7_4 Depth=1
	s_add_u32 s4, s64, s4
	s_addc_u32 s5, s65, s5
	s_add_u32 s42, s76, s42
	s_addc_u32 s43, s77, s43
	s_add_i32 s7, s14, 1
	s_lshl_b64 s[38:39], s[38:39], 2
	v_mov_b32_e32 v3, s7
	s_add_u32 s38, s66, s38
	s_addc_u32 s39, s67, s39
	s_waitcnt vmcnt(0)
	s_clause 0x2
	global_store_b64 v22, v[1:2], s[4:5]
	global_store_b32 v22, v23, s[42:43]
	global_store_b32 v22, v3, s[38:39]
	s_branch .LBB7_2
.LBB7_98:
	s_endpgm
	.section	.rodata,"a",@progbits
	.p2align	6, 0x0
	.amdhsa_kernel _ZN9rocsolver6v33100L22stebz_bisection_kernelIdPdEEv15rocblas_erange_iT_T0_iiS5_iiPiPS4_lS6_lS6_lS6_S6_S7_S7_S7_S7_S6_S4_S4_
		.amdhsa_group_segment_fixed_size 6664
		.amdhsa_private_segment_fixed_size 0
		.amdhsa_kernarg_size 176
		.amdhsa_user_sgpr_count 14
		.amdhsa_user_sgpr_dispatch_ptr 0
		.amdhsa_user_sgpr_queue_ptr 0
		.amdhsa_user_sgpr_kernarg_segment_ptr 1
		.amdhsa_user_sgpr_dispatch_id 0
		.amdhsa_user_sgpr_private_segment_size 0
		.amdhsa_wavefront_size32 1
		.amdhsa_uses_dynamic_stack 0
		.amdhsa_enable_private_segment 0
		.amdhsa_system_sgpr_workgroup_id_x 1
		.amdhsa_system_sgpr_workgroup_id_y 1
		.amdhsa_system_sgpr_workgroup_id_z 0
		.amdhsa_system_sgpr_workgroup_info 0
		.amdhsa_system_vgpr_workitem_id 0
		.amdhsa_next_free_vgpr 46
		.amdhsa_next_free_sgpr 91
		.amdhsa_reserve_vcc 1
		.amdhsa_float_round_mode_32 0
		.amdhsa_float_round_mode_16_64 0
		.amdhsa_float_denorm_mode_32 3
		.amdhsa_float_denorm_mode_16_64 3
		.amdhsa_dx10_clamp 1
		.amdhsa_ieee_mode 1
		.amdhsa_fp16_overflow 0
		.amdhsa_workgroup_processor_mode 1
		.amdhsa_memory_ordered 1
		.amdhsa_forward_progress 0
		.amdhsa_shared_vgpr_count 0
		.amdhsa_exception_fp_ieee_invalid_op 0
		.amdhsa_exception_fp_denorm_src 0
		.amdhsa_exception_fp_ieee_div_zero 0
		.amdhsa_exception_fp_ieee_overflow 0
		.amdhsa_exception_fp_ieee_underflow 0
		.amdhsa_exception_fp_ieee_inexact 0
		.amdhsa_exception_int_div_zero 0
	.end_amdhsa_kernel
	.section	.text._ZN9rocsolver6v33100L22stebz_bisection_kernelIdPdEEv15rocblas_erange_iT_T0_iiS5_iiPiPS4_lS6_lS6_lS6_S6_S7_S7_S7_S7_S6_S4_S4_,"axG",@progbits,_ZN9rocsolver6v33100L22stebz_bisection_kernelIdPdEEv15rocblas_erange_iT_T0_iiS5_iiPiPS4_lS6_lS6_lS6_S6_S7_S7_S7_S7_S6_S4_S4_,comdat
.Lfunc_end7:
	.size	_ZN9rocsolver6v33100L22stebz_bisection_kernelIdPdEEv15rocblas_erange_iT_T0_iiS5_iiPiPS4_lS6_lS6_lS6_S6_S7_S7_S7_S7_S6_S4_S4_, .Lfunc_end7-_ZN9rocsolver6v33100L22stebz_bisection_kernelIdPdEEv15rocblas_erange_iT_T0_iiS5_iiPiPS4_lS6_lS6_lS6_S6_S7_S7_S7_S7_S6_S4_S4_
                                        ; -- End function
	.section	.AMDGPU.csdata,"",@progbits
; Kernel info:
; codeLenInByte = 6372
; NumSgprs: 93
; NumVgprs: 46
; ScratchSize: 0
; MemoryBound: 0
; FloatMode: 240
; IeeeMode: 1
; LDSByteSize: 6664 bytes/workgroup (compile time only)
; SGPRBlocks: 11
; VGPRBlocks: 5
; NumSGPRsForWavesPerEU: 93
; NumVGPRsForWavesPerEU: 46
; Occupancy: 16
; WaveLimiterHint : 1
; COMPUTE_PGM_RSRC2:SCRATCH_EN: 0
; COMPUTE_PGM_RSRC2:USER_SGPR: 14
; COMPUTE_PGM_RSRC2:TRAP_HANDLER: 0
; COMPUTE_PGM_RSRC2:TGID_X_EN: 1
; COMPUTE_PGM_RSRC2:TGID_Y_EN: 1
; COMPUTE_PGM_RSRC2:TGID_Z_EN: 0
; COMPUTE_PGM_RSRC2:TIDIG_COMP_CNT: 0
	.section	.text._ZN9rocsolver6v33100L22stebz_synthesis_kernelIdPdEEv15rocblas_erange_15rocblas_eorder_iiiT0_iiPiS6_PT_lS6_lS6_liS6_S8_S8_S8_S8_S6_S7_,"axG",@progbits,_ZN9rocsolver6v33100L22stebz_synthesis_kernelIdPdEEv15rocblas_erange_15rocblas_eorder_iiiT0_iiPiS6_PT_lS6_lS6_liS6_S8_S8_S8_S8_S6_S7_,comdat
	.globl	_ZN9rocsolver6v33100L22stebz_synthesis_kernelIdPdEEv15rocblas_erange_15rocblas_eorder_iiiT0_iiPiS6_PT_lS6_lS6_liS6_S8_S8_S8_S8_S6_S7_ ; -- Begin function _ZN9rocsolver6v33100L22stebz_synthesis_kernelIdPdEEv15rocblas_erange_15rocblas_eorder_iiiT0_iiPiS6_PT_lS6_lS6_liS6_S8_S8_S8_S8_S6_S7_
	.p2align	8
	.type	_ZN9rocsolver6v33100L22stebz_synthesis_kernelIdPdEEv15rocblas_erange_15rocblas_eorder_iiiT0_iiPiS6_PT_lS6_lS6_liS6_S8_S8_S8_S8_S6_S7_,@function
_ZN9rocsolver6v33100L22stebz_synthesis_kernelIdPdEEv15rocblas_erange_15rocblas_eorder_iiiT0_iiPiS6_PT_lS6_lS6_liS6_S8_S8_S8_S8_S6_S7_: ; @_ZN9rocsolver6v33100L22stebz_synthesis_kernelIdPdEEv15rocblas_erange_15rocblas_eorder_iiiT0_iiPiS6_PT_lS6_lS6_liS6_S8_S8_S8_S8_S6_S7_
; %bb.0:
	s_clause 0x1
	s_load_b32 s2, s[0:1], 0xb4
	s_load_b32 s3, s[0:1], 0x68
	s_waitcnt lgkmcnt(0)
	s_and_b32 s2, s2, 0xffff
	s_delay_alu instid0(SALU_CYCLE_1) | instskip(SKIP_1) | instid1(VALU_DEP_1)
	v_mad_u64_u32 v[4:5], null, s15, s2, v[0:1]
	s_mov_b32 s2, exec_lo
	v_cmpx_gt_i32_e64 s3, v4
	s_cbranch_execz .LBB8_61
; %bb.1:
	s_load_b512 s[4:19], s[0:1], 0x28
	v_ashrrev_i32_e32 v5, 31, v4
	s_load_b256 s[20:27], s[0:1], 0x70
	s_delay_alu instid0(VALU_DEP_1) | instskip(SKIP_1) | instid1(VALU_DEP_1)
	v_lshlrev_b64 v[2:3], 2, v[4:5]
	s_waitcnt lgkmcnt(0)
	v_add_co_u32 v0, vcc_lo, s6, v2
	s_delay_alu instid0(VALU_DEP_2)
	v_add_co_ci_u32_e32 v1, vcc_lo, s7, v3, vcc_lo
	v_mul_lo_u32 v10, v4, s11
	v_mul_lo_u32 v11, v5, s10
	;; [unrolled: 1-line block ×3, first 2 shown]
	global_load_b32 v25, v[0:1], off
	s_clause 0x1
	s_load_b128 s[28:31], s[0:1], 0x0
	s_load_b32 s33, s[0:1], 0x10
	v_mad_u64_u32 v[0:1], null, v4, s10, 0
	v_mul_lo_u32 v14, v5, s14
	v_mad_u64_u32 v[6:7], null, v4, s14, 0
	v_mul_lo_u32 v15, v4, s19
	v_mul_lo_u32 v16, v5, s18
	v_mad_u64_u32 v[8:9], null, v4, s18, 0
	v_add3_u32 v1, v1, v10, v11
	v_add3_u32 v7, v7, v13, v14
	s_delay_alu instid0(VALU_DEP_2) | instskip(NEXT) | instid1(VALU_DEP_4)
	v_lshlrev_b64 v[0:1], 3, v[0:1]
	v_add3_u32 v9, v9, v15, v16
	s_delay_alu instid0(VALU_DEP_3)
	v_lshlrev_b64 v[10:11], 2, v[6:7]
	s_waitcnt lgkmcnt(0)
	v_mul_lo_u32 v12, v4, s30
	s_cmpk_eq_i32 s28, 0xe9
	v_lshlrev_b64 v[6:7], 2, v[8:9]
	v_add_co_u32 v28, vcc_lo, s8, v0
	v_add_co_ci_u32_e32 v29, vcc_lo, s9, v1, vcc_lo
	v_add_co_u32 v30, vcc_lo, s12, v10
	v_ashrrev_i32_e32 v13, 31, v12
	v_add_co_ci_u32_e32 v31, vcc_lo, s13, v11, vcc_lo
	v_add_co_u32 v20, vcc_lo, s16, v6
	s_delay_alu instid0(VALU_DEP_3) | instskip(SKIP_1) | instid1(VALU_DEP_2)
	v_lshlrev_b64 v[8:9], 2, v[12:13]
	v_add_co_ci_u32_e32 v21, vcc_lo, s17, v7, vcc_lo
	v_add_co_u32 v26, vcc_lo, s20, v8
	s_delay_alu instid0(VALU_DEP_3)
	v_add_co_ci_u32_e32 v27, vcc_lo, s21, v9, vcc_lo
	s_waitcnt vmcnt(0)
	v_cmp_lt_i32_e32 vcc_lo, 0, v25
	v_cmp_gt_i32_e64 s2, 1, v25
	s_cbranch_scc1 .LBB8_12
; %bb.2:
	v_mov_b32_e32 v8, 0
	s_and_saveexec_b32 s14, vcc_lo
	s_cbranch_execz .LBB8_14
; %bb.3:
	v_add_co_u32 v22, vcc_lo, v20, -4
	v_add_co_ci_u32_e32 v23, vcc_lo, -1, v21, vcc_lo
	v_add_co_u32 v24, vcc_lo, s8, v0
	v_add_co_ci_u32_e32 v32, vcc_lo, s9, v1, vcc_lo
	v_add_co_u32 v33, vcc_lo, s12, v10
	v_add_co_ci_u32_e32 v34, vcc_lo, s13, v11, vcc_lo
	v_mov_b32_e32 v8, 0
	s_mov_b32 s7, 0
	s_mov_b32 s15, 0
	;; [unrolled: 1-line block ×3, first 2 shown]
	s_branch .LBB8_5
.LBB8_4:                                ;   in Loop: Header=BB8_5 Depth=1
	s_or_b32 exec_lo, exec_lo, s10
	s_add_i32 s6, s6, 1
	s_delay_alu instid0(SALU_CYCLE_1) | instskip(SKIP_1) | instid1(SALU_CYCLE_1)
	v_cmp_eq_u32_e32 vcc_lo, s6, v25
	s_or_b32 s15, vcc_lo, s15
	s_and_not1_b32 exec_lo, exec_lo, s15
	s_cbranch_execz .LBB8_13
.LBB8_5:                                ; =>This Loop Header: Depth=1
                                        ;     Child Loop BB8_10 Depth 2
	s_cmp_eq_u32 s6, 0
	s_cbranch_scc1 .LBB8_7
; %bb.6:                                ;   in Loop: Header=BB8_5 Depth=1
	s_lshl_b64 s[10:11], s[6:7], 2
	s_delay_alu instid0(SALU_CYCLE_1)
	v_add_co_u32 v6, vcc_lo, v22, s10
	v_add_co_ci_u32_e32 v7, vcc_lo, s11, v23, vcc_lo
	s_mov_b64 s[10:11], s[6:7]
	global_load_b32 v12, v[6:7], off
	s_branch .LBB8_8
.LBB8_7:                                ;   in Loop: Header=BB8_5 Depth=1
	v_mov_b32_e32 v12, 0
	s_mov_b64 s[10:11], 0
.LBB8_8:                                ;   in Loop: Header=BB8_5 Depth=1
	s_delay_alu instid0(SALU_CYCLE_1) | instskip(NEXT) | instid1(SALU_CYCLE_1)
	s_lshl_b64 s[10:11], s[10:11], 2
	v_add_co_u32 v6, vcc_lo, v26, s10
	v_add_co_ci_u32_e32 v7, vcc_lo, s11, v27, vcc_lo
	s_mov_b32 s10, exec_lo
	global_load_b32 v9, v[6:7], off
	s_waitcnt vmcnt(0)
	v_cmpx_lt_i32_e32 0, v9
	s_cbranch_execz .LBB8_4
; %bb.9:                                ;   in Loop: Header=BB8_5 Depth=1
	v_ashrrev_i32_e32 v13, 31, v12
	v_ashrrev_i32_e32 v9, 31, v8
	s_mov_b32 s11, 0
	s_mov_b32 s16, 0
	s_delay_alu instid0(VALU_DEP_2) | instskip(SKIP_3) | instid1(VALU_DEP_4)
	v_lshlrev_b64 v[14:15], 3, v[12:13]
	v_lshlrev_b64 v[16:17], 2, v[12:13]
	;; [unrolled: 1-line block ×4, first 2 shown]
	v_add_co_u32 v12, vcc_lo, v24, v14
	v_add_co_ci_u32_e32 v13, vcc_lo, v32, v15, vcc_lo
	v_add_co_u32 v14, vcc_lo, v33, v16
	v_add_co_ci_u32_e32 v15, vcc_lo, v34, v17, vcc_lo
	;; [unrolled: 2-line block ×4, first 2 shown]
	.p2align	6
.LBB8_10:                               ;   Parent Loop BB8_5 Depth=1
                                        ; =>  This Inner Loop Header: Depth=2
	global_load_b32 v9, v[14:15], off
	s_add_i32 s16, s16, 1
	s_waitcnt vmcnt(0)
	global_store_b32 v[18:19], v9, off
	global_load_b32 v37, v[6:7], off
	global_load_b64 v[35:36], v[12:13], off
	v_add_co_u32 v12, vcc_lo, v12, 8
	v_add_co_ci_u32_e32 v13, vcc_lo, 0, v13, vcc_lo
	v_add_co_u32 v14, vcc_lo, v14, 4
	v_add_co_ci_u32_e32 v15, vcc_lo, 0, v15, vcc_lo
	v_add_co_u32 v18, s3, v18, 4
	v_add_nc_u32_e32 v9, s16, v8
	v_add_co_ci_u32_e64 v19, s3, 0, v19, s3
	s_waitcnt vmcnt(0)
	global_store_b64 v[16:17], v[35:36], off
	v_add_co_u32 v16, vcc_lo, v16, 8
	v_add_co_ci_u32_e32 v17, vcc_lo, 0, v17, vcc_lo
	v_cmp_ge_i32_e32 vcc_lo, s16, v37
	s_or_b32 s11, vcc_lo, s11
	s_delay_alu instid0(SALU_CYCLE_1)
	s_and_not1_b32 exec_lo, exec_lo, s11
	s_cbranch_execnz .LBB8_10
; %bb.11:                               ;   in Loop: Header=BB8_5 Depth=1
	s_or_b32 exec_lo, exec_lo, s11
	v_mov_b32_e32 v8, v9
	s_branch .LBB8_4
.LBB8_12:
                                        ; implicit-def: $vgpr8
	s_branch .LBB8_15
.LBB8_13:
	s_or_b32 exec_lo, exec_lo, s15
.LBB8_14:
	s_delay_alu instid0(SALU_CYCLE_1)
	s_or_b32 exec_lo, exec_lo, s14
	s_cbranch_execnz .LBB8_53
.LBB8_15:
	v_lshlrev_b64 v[5:6], 3, v[4:5]
	s_load_b128 s[16:19], s[0:1], 0x90
	v_lshlrev_b32_e32 v12, 1, v4
                                        ; implicit-def: $sgpr3
                                        ; implicit-def: $sgpr6_sgpr7
	s_delay_alu instid0(VALU_DEP_2) | instskip(NEXT) | instid1(VALU_DEP_3)
	v_add_co_u32 v5, vcc_lo, s22, v5
	v_add_co_ci_u32_e32 v6, vcc_lo, s23, v6, vcc_lo
	s_delay_alu instid0(VALU_DEP_3) | instskip(SKIP_3) | instid1(SALU_CYCLE_1)
	v_mul_lo_u32 v8, v12, s30
	global_load_b64 v[5:6], v[5:6], off
	v_ashrrev_i32_e32 v9, 31, v8
	s_and_saveexec_b32 s10, s2
	s_xor_b32 s2, exec_lo, s10
; %bb.16:
	s_ashr_i32 s7, s30, 31
	s_mov_b32 s6, s30
	s_mov_b32 s3, 0
                                        ; implicit-def: $vgpr25
                                        ; implicit-def: $vgpr26
                                        ; implicit-def: $vgpr27
                                        ; implicit-def: $vgpr20
                                        ; implicit-def: $vgpr21
                                        ; implicit-def: $vgpr10_vgpr11
; %bb.17:
	s_or_saveexec_b32 s20, s2
	v_lshlrev_b64 v[13:14], 3, v[8:9]
	v_lshlrev_b64 v[15:16], 2, v[8:9]
	v_mov_b32_e32 v9, s7
	v_dual_mov_b32 v7, s3 :: v_dual_mov_b32 v8, s6
	s_xor_b32 exec_lo, exec_lo, s20
	s_cbranch_execz .LBB8_28
; %bb.18:
	v_add_co_u32 v32, vcc_lo, v20, -4
	v_add_co_ci_u32_e32 v33, vcc_lo, -1, v21, vcc_lo
	v_add_co_u32 v34, vcc_lo, s8, v0
	v_add_co_ci_u32_e32 v35, vcc_lo, s9, v1, vcc_lo
	v_add_co_u32 v36, vcc_lo, s12, v10
	v_add_co_ci_u32_e32 v11, vcc_lo, s13, v11, vcc_lo
	s_waitcnt lgkmcnt(0)
	v_add_co_u32 v37, vcc_lo, s16, v13
	v_add_co_ci_u32_e32 v38, vcc_lo, s17, v14, vcc_lo
	v_add_co_u32 v39, vcc_lo, s18, v15
	v_add_co_ci_u32_e32 v40, vcc_lo, s19, v16, vcc_lo
	v_mov_b32_e32 v7, 0
	s_ashr_i32 s7, s30, 31
	s_mov_b32 s6, s30
	s_mov_b32 s15, 0
	s_lshl_b64 s[10:11], s[6:7], 3
	s_mov_b32 s21, 0
	s_mov_b32 s14, s15
	s_branch .LBB8_20
.LBB8_19:                               ;   in Loop: Header=BB8_20 Depth=1
	s_or_b32 exec_lo, exec_lo, s3
	s_add_i32 s14, s14, 1
	s_delay_alu instid0(SALU_CYCLE_1) | instskip(SKIP_1) | instid1(SALU_CYCLE_1)
	v_cmp_eq_u32_e32 vcc_lo, s14, v25
	s_or_b32 s21, vcc_lo, s21
	s_and_not1_b32 exec_lo, exec_lo, s21
	s_cbranch_execz .LBB8_27
.LBB8_20:                               ; =>This Loop Header: Depth=1
                                        ;     Child Loop BB8_25 Depth 2
	s_cmp_eq_u32 s14, 0
	s_cbranch_scc1 .LBB8_22
; %bb.21:                               ;   in Loop: Header=BB8_20 Depth=1
	s_lshl_b64 s[2:3], s[14:15], 2
	s_delay_alu instid0(SALU_CYCLE_1)
	v_add_co_u32 v8, vcc_lo, v32, s2
	v_add_co_ci_u32_e32 v9, vcc_lo, s3, v33, vcc_lo
	s_mov_b64 s[2:3], s[14:15]
	global_load_b32 v17, v[8:9], off
	s_branch .LBB8_23
.LBB8_22:                               ;   in Loop: Header=BB8_20 Depth=1
	v_mov_b32_e32 v17, 0
	s_mov_b64 s[2:3], 0
.LBB8_23:                               ;   in Loop: Header=BB8_20 Depth=1
	s_delay_alu instid0(SALU_CYCLE_1) | instskip(NEXT) | instid1(SALU_CYCLE_1)
	s_lshl_b64 s[2:3], s[2:3], 2
	v_add_co_u32 v9, vcc_lo, v26, s2
	v_add_co_ci_u32_e32 v10, vcc_lo, s3, v27, vcc_lo
	s_mov_b32 s3, exec_lo
	global_load_b32 v8, v[9:10], off
	s_waitcnt vmcnt(0)
	v_cmpx_lt_i32_e32 0, v8
	s_cbranch_execz .LBB8_19
; %bb.24:                               ;   in Loop: Header=BB8_20 Depth=1
	v_ashrrev_i32_e32 v18, 31, v17
	v_ashrrev_i32_e32 v8, 31, v7
	s_mov_b32 s22, 0
	s_mov_b32 s23, 0
	s_delay_alu instid0(VALU_DEP_2) | instskip(SKIP_3) | instid1(VALU_DEP_4)
	v_lshlrev_b64 v[19:20], 3, v[17:18]
	v_lshlrev_b64 v[21:22], 2, v[17:18]
	;; [unrolled: 1-line block ×4, first 2 shown]
	v_add_co_u32 v17, vcc_lo, v34, v19
	v_add_co_ci_u32_e32 v18, vcc_lo, v35, v20, vcc_lo
	v_add_co_u32 v19, vcc_lo, v36, v21
	v_add_co_ci_u32_e32 v20, vcc_lo, v11, v22, vcc_lo
	;; [unrolled: 2-line block ×4, first 2 shown]
	s_set_inst_prefetch_distance 0x1
	.p2align	6
.LBB8_25:                               ;   Parent Loop BB8_20 Depth=1
                                        ; =>  This Inner Loop Header: Depth=2
	global_load_b32 v8, v[19:20], off
	v_add_co_u32 v43, vcc_lo, v21, s10
	v_add_co_ci_u32_e32 v44, vcc_lo, s11, v22, vcc_lo
	s_add_i32 s23, s23, 1
	s_waitcnt vmcnt(0)
	global_store_b32 v[23:24], v8, off
	global_load_b32 v45, v[9:10], off
	global_load_b64 v[41:42], v[17:18], off
	v_add_co_u32 v17, vcc_lo, v17, 8
	v_add_co_ci_u32_e32 v18, vcc_lo, 0, v18, vcc_lo
	v_add_co_u32 v19, vcc_lo, v19, 4
	v_add_co_ci_u32_e32 v20, vcc_lo, 0, v20, vcc_lo
	v_add_co_u32 v23, s2, v23, 4
	v_add_nc_u32_e32 v8, s23, v7
	v_add_co_ci_u32_e64 v24, s2, 0, v24, s2
	s_waitcnt vmcnt(0)
	global_store_b64 v[21:22], v[41:42], off
	v_add_co_u32 v21, vcc_lo, v21, 8
	v_add_co_ci_u32_e32 v22, vcc_lo, 0, v22, vcc_lo
	v_cmp_ge_i32_e32 vcc_lo, s23, v45
	global_store_b64 v[43:44], v[41:42], off
	s_or_b32 s22, vcc_lo, s22
	s_delay_alu instid0(SALU_CYCLE_1)
	s_and_not1_b32 exec_lo, exec_lo, s22
	s_cbranch_execnz .LBB8_25
; %bb.26:                               ;   in Loop: Header=BB8_20 Depth=1
	s_set_inst_prefetch_distance 0x2
	s_or_b32 exec_lo, exec_lo, s22
	v_mov_b32_e32 v7, v8
	s_branch .LBB8_19
.LBB8_27:
	s_or_b32 exec_lo, exec_lo, s21
	v_dual_mov_b32 v9, s7 :: v_dual_mov_b32 v8, s6
.LBB8_28:
	s_or_b32 exec_lo, exec_lo, s20
; %bb.29:
	s_waitcnt lgkmcnt(0)
	v_add_co_u32 v32, vcc_lo, s16, v13
	s_delay_alu instid0(VALU_DEP_2) | instskip(SKIP_3) | instid1(VALU_DEP_4)
	v_lshlrev_b64 v[17:18], 3, v[8:9]
	v_add_co_ci_u32_e32 v33, vcc_lo, s17, v14, vcc_lo
	v_add_co_u32 v34, vcc_lo, s18, v15
	v_add_co_ci_u32_e32 v35, vcc_lo, s19, v16, vcc_lo
	v_add_co_u32 v10, vcc_lo, v32, v17
	s_delay_alu instid0(VALU_DEP_4)
	v_add_co_ci_u32_e32 v11, vcc_lo, v33, v18, vcc_lo
	s_mov_b32 s6, 1
	s_mov_b32 s10, exec_lo
	v_cmpx_lt_i32_e32 1, v7
	s_cbranch_execz .LBB8_37
; %bb.30:
	v_lshlrev_b64 v[8:9], 2, v[8:9]
	s_cmp_lg_u64 s[18:19], 0
	s_mov_b32 s14, 0
	s_cselect_b32 s11, -1, 0
	s_delay_alu instid0(VALU_DEP_1) | instskip(NEXT) | instid1(VALU_DEP_2)
	v_add_co_u32 v23, vcc_lo, v34, v8
	v_add_co_ci_u32_e32 v24, vcc_lo, v35, v9, vcc_lo
	v_add_co_u32 v8, vcc_lo, v17, v13
	v_add_co_ci_u32_e32 v9, vcc_lo, v18, v14, vcc_lo
	v_add_co_u32 v25, vcc_lo, v10, -8
	v_add_co_ci_u32_e32 v26, vcc_lo, -1, v11, vcc_lo
	s_delay_alu instid0(VALU_DEP_4) | instskip(NEXT) | instid1(VALU_DEP_4)
	v_add_co_u32 v8, vcc_lo, v8, s16
	v_add_co_ci_u32_e32 v9, vcc_lo, s17, v9, vcc_lo
	v_add_co_u32 v27, vcc_lo, v23, -4
	v_add_co_ci_u32_e32 v36, vcc_lo, -1, v24, vcc_lo
	s_delay_alu instid0(VALU_DEP_4) | instskip(NEXT) | instid1(VALU_DEP_4)
	v_add_co_u32 v8, vcc_lo, v8, 8
	v_add_co_ci_u32_e32 v9, vcc_lo, 0, v9, vcc_lo
	s_branch .LBB8_32
.LBB8_31:                               ;   in Loop: Header=BB8_32 Depth=1
	s_or_b32 exec_lo, exec_lo, s2
	s_add_i32 s6, s6, 1
	v_add_co_u32 v8, s2, v8, 8
	v_cmp_eq_u32_e32 vcc_lo, s6, v7
	v_add_co_ci_u32_e64 v9, s2, 0, v9, s2
	s_or_b32 s14, vcc_lo, s14
	s_delay_alu instid0(SALU_CYCLE_1)
	s_and_not1_b32 exec_lo, exec_lo, s14
	s_cbranch_execz .LBB8_37
.LBB8_32:                               ; =>This Loop Header: Depth=1
                                        ;     Child Loop BB8_33 Depth 2
	s_ashr_i32 s7, s6, 31
	s_add_i32 s15, s6, -1
	s_lshl_b64 s[2:3], s[6:7], 3
	v_dual_mov_b32 v13, s15 :: v_dual_mov_b32 v22, v9
	v_add_co_u32 v15, vcc_lo, v25, s2
	v_add_co_ci_u32_e32 v16, vcc_lo, s3, v26, vcc_lo
	s_mov_b32 s16, 0
	s_mov_b32 s17, s6
	global_load_b64 v[17:18], v[15:16], off
	s_waitcnt vmcnt(0)
	v_dual_mov_b32 v21, v8 :: v_dual_mov_b32 v20, v18
	v_mov_b32_e32 v19, v17
	.p2align	6
.LBB8_33:                               ;   Parent Loop BB8_32 Depth=1
                                        ; =>  This Inner Loop Header: Depth=2
	global_load_b64 v[37:38], v[21:22], off
	v_add_co_u32 v21, s2, v21, 8
	s_delay_alu instid0(VALU_DEP_1)
	v_add_co_ci_u32_e64 v22, s2, 0, v22, s2
	s_waitcnt vmcnt(0)
	v_cmp_lt_f64_e32 vcc_lo, v[37:38], v[19:20]
	v_cndmask_b32_e64 v13, v13, s17, vcc_lo
	s_add_i32 s17, s17, 1
	v_dual_cndmask_b32 v20, v20, v38 :: v_dual_cndmask_b32 v19, v19, v37
	v_cmp_ge_i32_e64 s3, s17, v7
	s_delay_alu instid0(VALU_DEP_1) | instskip(NEXT) | instid1(SALU_CYCLE_1)
	s_or_b32 s16, s3, s16
	s_and_not1_b32 exec_lo, exec_lo, s16
	s_cbranch_execnz .LBB8_33
; %bb.34:                               ;   in Loop: Header=BB8_32 Depth=1
	s_or_b32 exec_lo, exec_lo, s16
	s_delay_alu instid0(SALU_CYCLE_1)
	s_mov_b32 s2, exec_lo
	v_cmpx_ne_u32_e64 s15, v13
	s_cbranch_execz .LBB8_31
; %bb.35:                               ;   in Loop: Header=BB8_32 Depth=1
	v_ashrrev_i32_e32 v14, 31, v13
	s_delay_alu instid0(VALU_DEP_1) | instskip(NEXT) | instid1(VALU_DEP_1)
	v_lshlrev_b64 v[21:22], 3, v[13:14]
	v_add_co_u32 v21, vcc_lo, v10, v21
	s_delay_alu instid0(VALU_DEP_2)
	v_add_co_ci_u32_e32 v22, vcc_lo, v11, v22, vcc_lo
	s_and_not1_b32 vcc_lo, exec_lo, s11
	s_clause 0x1
	global_store_b64 v[21:22], v[17:18], off
	global_store_b64 v[15:16], v[19:20], off
	s_cbranch_vccnz .LBB8_31
; %bb.36:                               ;   in Loop: Header=BB8_32 Depth=1
	v_lshlrev_b64 v[13:14], 2, v[13:14]
	s_lshl_b64 s[16:17], s[6:7], 2
	s_delay_alu instid0(SALU_CYCLE_1) | instskip(SKIP_1) | instid1(VALU_DEP_3)
	v_add_co_u32 v15, vcc_lo, v27, s16
	v_add_co_ci_u32_e32 v16, vcc_lo, s17, v36, vcc_lo
	v_add_co_u32 v13, vcc_lo, v23, v13
	s_delay_alu instid0(VALU_DEP_4)
	v_add_co_ci_u32_e32 v14, vcc_lo, v24, v14, vcc_lo
	s_clause 0x1
	global_load_b32 v17, v[15:16], off
	global_load_b32 v18, v[13:14], off
	s_waitcnt vmcnt(1)
	global_store_b32 v[13:14], v17, off
	s_waitcnt vmcnt(0)
	global_store_b32 v[15:16], v18, off
	s_branch .LBB8_31
.LBB8_37:
	s_or_b32 exec_lo, exec_lo, s10
	v_mov_b32_e32 v8, 0
	s_mov_b32 s3, 0
	s_mov_b32 s6, exec_lo
	v_cmpx_lt_i32_e32 0, v7
	s_cbranch_execz .LBB8_52
; %bb.38:
	s_load_b128 s[16:19], s[0:1], 0x18
	v_ashrrev_i32_e32 v13, 31, v12
	v_add_nc_u32_e32 v36, -1, v7
	v_mov_b32_e32 v8, 0
	s_waitcnt vmcnt(0)
	v_xor_b32_e32 v38, 0x80000000, v6
	s_mov_b32 s10, 0
	v_lshlrev_b64 v[12:13], 3, v[12:13]
	s_waitcnt lgkmcnt(0)
	s_ashr_i32 s1, s18, 31
	s_mov_b32 s0, s18
	v_mad_i64_i32 v[14:15], null, v4, s19, 0
	s_lshl_b64 s[0:1], s[0:1], 3
	s_delay_alu instid0(SALU_CYCLE_1) | instskip(SKIP_4) | instid1(VALU_DEP_2)
	s_add_u32 s0, s16, s0
	s_addc_u32 s2, s17, s1
	s_add_i32 s1, s30, -1
	s_cmp_gt_i32 s30, 1
	v_mul_lo_u32 v16, v4, s1
	v_lshlrev_b64 v[14:15], 3, v[14:15]
	v_add_co_u32 v4, vcc_lo, s26, v12
	v_add_co_ci_u32_e32 v37, vcc_lo, s27, v13, vcc_lo
	s_cselect_b32 s7, -1, 0
	s_delay_alu instid0(VALU_DEP_3) | instskip(SKIP_2) | instid1(VALU_DEP_3)
	v_add_co_u32 v12, vcc_lo, s0, v14
	v_ashrrev_i32_e32 v17, 31, v16
	v_add_co_ci_u32_e32 v13, vcc_lo, s2, v15, vcc_lo
	v_add_co_u32 v14, vcc_lo, v12, 8
	s_delay_alu instid0(VALU_DEP_3) | instskip(NEXT) | instid1(VALU_DEP_3)
	v_lshlrev_b64 v[16:17], 3, v[16:17]
	v_add_co_ci_u32_e32 v15, vcc_lo, 0, v13, vcc_lo
	s_mov_b32 s2, s3
	s_delay_alu instid0(VALU_DEP_2) | instskip(NEXT) | instid1(VALU_DEP_3)
	v_add_co_u32 v16, vcc_lo, s24, v16
	v_add_co_ci_u32_e32 v17, vcc_lo, s25, v17, vcc_lo
	s_branch .LBB8_41
.LBB8_39:                               ;   in Loop: Header=BB8_41 Depth=1
	s_or_b32 exec_lo, exec_lo, s0
.LBB8_40:                               ;   in Loop: Header=BB8_41 Depth=1
	s_delay_alu instid0(SALU_CYCLE_1) | instskip(SKIP_1) | instid1(SALU_CYCLE_1)
	s_or_b32 exec_lo, exec_lo, s11
	s_add_i32 s2, s2, 1
	v_cmp_eq_u32_e32 vcc_lo, s2, v7
	s_or_b32 s10, vcc_lo, s10
	s_delay_alu instid0(SALU_CYCLE_1)
	s_and_not1_b32 exec_lo, exec_lo, s10
	s_cbranch_execz .LBB8_51
.LBB8_41:                               ; =>This Loop Header: Depth=1
                                        ;     Child Loop BB8_43 Depth 2
                                        ;     Child Loop BB8_48 Depth 2
	s_lshl_b64 s[14:15], s[2:3], 3
	v_dual_mov_b32 v25, v11 :: v_dual_mov_b32 v24, v10
	v_add_co_u32 v18, vcc_lo, v32, s14
	v_add_co_ci_u32_e32 v19, vcc_lo, s15, v33, vcc_lo
	s_mov_b32 s11, 0
	s_mov_b32 s17, 0
                                        ; implicit-def: $sgpr14
                                        ; implicit-def: $sgpr16
                                        ; implicit-def: $sgpr15
	global_load_b64 v[18:19], v[18:19], off
	s_set_inst_prefetch_distance 0x1
	s_branch .LBB8_43
	.p2align	6
.LBB8_42:                               ;   in Loop: Header=BB8_43 Depth=2
	s_or_b32 exec_lo, exec_lo, s19
	s_delay_alu instid0(SALU_CYCLE_1)
	s_and_b32 s0, exec_lo, s16
	v_mov_b32_e32 v9, s17
	s_or_b32 s11, s0, s11
	s_and_not1_b32 s0, s14, exec_lo
	s_and_b32 s14, s15, exec_lo
	s_mov_b32 s17, s18
	s_or_b32 s14, s0, s14
	s_and_not1_b32 exec_lo, exec_lo, s11
	s_cbranch_execz .LBB8_45
.LBB8_43:                               ;   Parent Loop BB8_41 Depth=1
                                        ; =>  This Inner Loop Header: Depth=2
	global_load_b64 v[20:21], v[24:25], off
	v_dual_mov_b32 v22, v24 :: v_dual_mov_b32 v23, v25
	s_or_b32 s15, s15, exec_lo
	s_or_b32 s16, s16, exec_lo
	s_mov_b32 s19, exec_lo
                                        ; implicit-def: $sgpr18
                                        ; implicit-def: $vgpr24_vgpr25
	s_waitcnt vmcnt(0)
	v_cmpx_neq_f64_e32 v[18:19], v[20:21]
	s_cbranch_execz .LBB8_42
; %bb.44:                               ;   in Loop: Header=BB8_43 Depth=2
	s_add_i32 s18, s17, 1
	v_add_co_u32 v24, s0, v22, 8
	v_cmp_eq_u32_e32 vcc_lo, s18, v7
	v_add_co_ci_u32_e64 v25, s0, 0, v23, s0
	s_and_not1_b32 s0, s16, exec_lo
	s_and_not1_b32 s15, s15, exec_lo
	s_and_b32 s16, vcc_lo, exec_lo
	s_delay_alu instid0(SALU_CYCLE_1)
	s_or_b32 s16, s0, s16
	s_branch .LBB8_42
.LBB8_45:                               ;   in Loop: Header=BB8_41 Depth=1
	s_set_inst_prefetch_distance 0x2
	s_or_b32 exec_lo, exec_lo, s11
	s_and_saveexec_b32 s0, s14
	s_delay_alu instid0(SALU_CYCLE_1)
	s_xor_b32 s11, exec_lo, s0
	s_cbranch_execz .LBB8_40
; %bb.46:                               ;   in Loop: Header=BB8_41 Depth=1
	v_cmp_eq_u32_e32 vcc_lo, v9, v36
	v_dual_cndmask_b32 v23, v23, v37 :: v_dual_cndmask_b32 v22, v22, v4
	s_and_not1_b32 vcc_lo, exec_lo, s7
	global_load_b64 v[22:23], v[22:23], off offset:8
	global_load_b64 v[24:25], v[12:13], off
	s_waitcnt vmcnt(1)
	v_add_f64 v[20:21], v[22:23], -v[20:21]
	s_delay_alu instid0(VALU_DEP_1) | instskip(SKIP_1) | instid1(VALU_DEP_1)
	v_fma_f64 v[20:21], v[20:21], 0.5, v[18:19]
	s_waitcnt vmcnt(0)
	v_add_f64 v[24:25], v[24:25], -v[20:21]
	s_delay_alu instid0(VALU_DEP_1) | instskip(NEXT) | instid1(VALU_DEP_1)
	v_cmp_le_f64_e64 s0, v[24:25], v[5:6]
	v_cndmask_b32_e64 v9, 0, 1, s0
	s_cbranch_vccnz .LBB8_49
; %bb.47:                               ;   in Loop: Header=BB8_41 Depth=1
	v_cmp_gt_f64_e64 s14, v[24:25], -v[5:6]
	v_dual_mov_b32 v23, v15 :: v_dual_mov_b32 v22, v14
	s_delay_alu instid0(VALU_DEP_2)
	s_and_b32 vcc_lo, s0, s14
	s_mov_b32 s14, s1
	v_dual_cndmask_b32 v27, v25, v38 :: v_dual_cndmask_b32 v26, v24, v5
	v_dual_mov_b32 v25, v17 :: v_dual_mov_b32 v24, v16
	s_set_inst_prefetch_distance 0x1
	.p2align	6
.LBB8_48:                               ;   Parent Loop BB8_41 Depth=1
                                        ; =>  This Inner Loop Header: Depth=2
	global_load_b64 v[39:40], v[24:25], off
	global_load_b64 v[43:44], v[22:23], off
	v_add_co_u32 v24, s0, v24, 8
	s_delay_alu instid0(VALU_DEP_1) | instskip(SKIP_1) | instid1(VALU_DEP_1)
	v_add_co_ci_u32_e64 v25, s0, 0, v25, s0
	v_add_co_u32 v22, s0, v22, 8
	v_add_co_ci_u32_e64 v23, s0, 0, v23, s0
	s_add_i32 s14, s14, -1
	s_waitcnt vmcnt(1)
	v_div_scale_f64 v[41:42], null, v[26:27], v[26:27], v[39:40]
	v_div_scale_f64 v[49:50], vcc_lo, v[39:40], v[26:27], v[39:40]
	s_waitcnt vmcnt(0)
	v_add_f64 v[43:44], v[43:44], -v[20:21]
	s_delay_alu instid0(VALU_DEP_3) | instskip(SKIP_2) | instid1(VALU_DEP_1)
	v_rcp_f64_e32 v[45:46], v[41:42]
	s_waitcnt_depctr 0xfff
	v_fma_f64 v[47:48], -v[41:42], v[45:46], 1.0
	v_fma_f64 v[45:46], v[45:46], v[47:48], v[45:46]
	s_delay_alu instid0(VALU_DEP_1) | instskip(NEXT) | instid1(VALU_DEP_1)
	v_fma_f64 v[47:48], -v[41:42], v[45:46], 1.0
	v_fma_f64 v[45:46], v[45:46], v[47:48], v[45:46]
	s_delay_alu instid0(VALU_DEP_1) | instskip(NEXT) | instid1(VALU_DEP_1)
	v_mul_f64 v[47:48], v[49:50], v[45:46]
	v_fma_f64 v[41:42], -v[41:42], v[47:48], v[49:50]
	s_delay_alu instid0(VALU_DEP_1) | instskip(NEXT) | instid1(VALU_DEP_1)
	v_div_fmas_f64 v[41:42], v[41:42], v[45:46], v[47:48]
	v_div_fixup_f64 v[26:27], v[41:42], v[26:27], v[39:40]
	s_delay_alu instid0(VALU_DEP_1) | instskip(NEXT) | instid1(VALU_DEP_1)
	v_add_f64 v[26:27], v[43:44], -v[26:27]
	v_cmp_le_f64_e32 vcc_lo, v[26:27], v[5:6]
	v_cmp_gt_f64_e64 s15, v[26:27], -v[5:6]
	v_add_co_ci_u32_e64 v9, s0, 0, v9, vcc_lo
	s_delay_alu instid0(VALU_DEP_2)
	s_and_b32 vcc_lo, vcc_lo, s15
	s_cmp_lg_u32 s14, 0
	v_dual_cndmask_b32 v27, v27, v38 :: v_dual_cndmask_b32 v26, v26, v5
	s_cbranch_scc1 .LBB8_48
.LBB8_49:                               ;   in Loop: Header=BB8_41 Depth=1
	s_set_inst_prefetch_distance 0x2
	s_delay_alu instid0(VALU_DEP_1) | instskip(SKIP_1) | instid1(VALU_DEP_1)
	v_cmp_le_i32_e32 vcc_lo, s31, v9
	v_cmp_ge_i32_e64 s0, s33, v9
	s_and_b32 s14, vcc_lo, s0
	s_delay_alu instid0(SALU_CYCLE_1)
	s_and_saveexec_b32 s0, s14
	s_cbranch_execz .LBB8_39
; %bb.50:                               ;   in Loop: Header=BB8_41 Depth=1
	s_lshl_b64 s[14:15], s[2:3], 2
	v_ashrrev_i32_e32 v9, 31, v8
	v_add_co_u32 v20, vcc_lo, v34, s14
	v_add_co_ci_u32_e32 v21, vcc_lo, s15, v35, vcc_lo
	s_delay_alu instid0(VALU_DEP_3) | instskip(SKIP_3) | instid1(VALU_DEP_2)
	v_lshlrev_b64 v[22:23], 2, v[8:9]
	global_load_b32 v24, v[20:21], off
	v_lshlrev_b64 v[20:21], 3, v[8:9]
	v_add_nc_u32_e32 v8, 1, v8
	v_add_co_u32 v20, vcc_lo, v28, v20
	s_delay_alu instid0(VALU_DEP_3)
	v_add_co_ci_u32_e32 v21, vcc_lo, v29, v21, vcc_lo
	v_add_co_u32 v22, vcc_lo, v30, v22
	v_add_co_ci_u32_e32 v23, vcc_lo, v31, v23, vcc_lo
	global_store_b64 v[20:21], v[18:19], off
	s_waitcnt vmcnt(0)
	global_store_b32 v[22:23], v24, off
	s_branch .LBB8_39
.LBB8_51:
	s_or_b32 exec_lo, exec_lo, s10
.LBB8_52:
	s_delay_alu instid0(SALU_CYCLE_1)
	s_or_b32 exec_lo, exec_lo, s6
.LBB8_53:
	v_add_co_u32 v2, vcc_lo, s4, v2
	v_add_co_ci_u32_e32 v3, vcc_lo, s5, v3, vcc_lo
	v_cmp_lt_i32_e32 vcc_lo, 1, v8
	s_cmpk_eq_i32 s29, 0xf2
	s_mov_b32 s2, 1
	s_cselect_b32 s0, -1, 0
	global_store_b32 v[2:3], v8, off
	s_and_b32 s0, s0, vcc_lo
	s_delay_alu instid0(SALU_CYCLE_1)
	s_and_b32 exec_lo, exec_lo, s0
	s_cbranch_execz .LBB8_61
; %bb.54:
	v_add_co_u32 v13, vcc_lo, v28, -8
	v_add_co_ci_u32_e32 v14, vcc_lo, -1, v29, vcc_lo
	v_add_co_u32 v0, vcc_lo, v0, s8
	v_add_co_ci_u32_e32 v1, vcc_lo, s9, v1, vcc_lo
	v_add_co_u32 v15, vcc_lo, v30, -4
	v_add_co_ci_u32_e32 v16, vcc_lo, -1, v31, vcc_lo
	s_delay_alu instid0(VALU_DEP_4) | instskip(NEXT) | instid1(VALU_DEP_4)
	v_add_co_u32 v0, vcc_lo, v0, 8
	v_add_co_ci_u32_e32 v1, vcc_lo, 0, v1, vcc_lo
	s_cmp_lg_u64 s[12:13], 0
	s_mov_b32 s5, 0
	s_cselect_b32 s4, -1, 0
	s_branch .LBB8_56
.LBB8_55:                               ;   in Loop: Header=BB8_56 Depth=1
	s_or_b32 exec_lo, exec_lo, s0
	s_add_i32 s2, s2, 1
	v_add_co_u32 v0, s0, v0, 8
	v_cmp_eq_u32_e32 vcc_lo, s2, v8
	v_add_co_ci_u32_e64 v1, s0, 0, v1, s0
	s_or_b32 s5, vcc_lo, s5
	s_delay_alu instid0(SALU_CYCLE_1)
	s_and_not1_b32 exec_lo, exec_lo, s5
	s_cbranch_execz .LBB8_61
.LBB8_56:                               ; =>This Loop Header: Depth=1
                                        ;     Child Loop BB8_57 Depth 2
	s_ashr_i32 s3, s2, 31
	s_add_i32 s6, s2, -1
	s_lshl_b64 s[0:1], s[2:3], 3
	v_mov_b32_e32 v2, s6
	v_add_co_u32 v4, vcc_lo, v13, s0
	s_waitcnt vmcnt(0)
	v_add_co_ci_u32_e32 v5, vcc_lo, s1, v14, vcc_lo
	s_mov_b32 s7, 0
	s_mov_b32 s8, s2
	global_load_b64 v[6:7], v[4:5], off
	v_dual_mov_b32 v12, v1 :: v_dual_mov_b32 v11, v0
	s_waitcnt vmcnt(0)
	v_dual_mov_b32 v10, v7 :: v_dual_mov_b32 v9, v6
	.p2align	6
.LBB8_57:                               ;   Parent Loop BB8_56 Depth=1
                                        ; =>  This Inner Loop Header: Depth=2
	global_load_b64 v[17:18], v[11:12], off
	v_add_co_u32 v11, s0, v11, 8
	s_delay_alu instid0(VALU_DEP_1)
	v_add_co_ci_u32_e64 v12, s0, 0, v12, s0
	s_waitcnt vmcnt(0)
	v_cmp_lt_f64_e32 vcc_lo, v[17:18], v[9:10]
	v_cndmask_b32_e64 v2, v2, s8, vcc_lo
	s_add_i32 s8, s8, 1
	v_dual_cndmask_b32 v10, v10, v18 :: v_dual_cndmask_b32 v9, v9, v17
	v_cmp_ge_i32_e64 s1, s8, v8
	s_delay_alu instid0(VALU_DEP_1) | instskip(NEXT) | instid1(SALU_CYCLE_1)
	s_or_b32 s7, s1, s7
	s_and_not1_b32 exec_lo, exec_lo, s7
	s_cbranch_execnz .LBB8_57
; %bb.58:                               ;   in Loop: Header=BB8_56 Depth=1
	s_or_b32 exec_lo, exec_lo, s7
	s_delay_alu instid0(SALU_CYCLE_1)
	s_mov_b32 s0, exec_lo
	v_cmpx_ne_u32_e64 s6, v2
	s_cbranch_execz .LBB8_55
; %bb.59:                               ;   in Loop: Header=BB8_56 Depth=1
	v_ashrrev_i32_e32 v3, 31, v2
	s_delay_alu instid0(VALU_DEP_1) | instskip(NEXT) | instid1(VALU_DEP_1)
	v_lshlrev_b64 v[11:12], 3, v[2:3]
	v_add_co_u32 v11, vcc_lo, v28, v11
	s_delay_alu instid0(VALU_DEP_2)
	v_add_co_ci_u32_e32 v12, vcc_lo, v29, v12, vcc_lo
	s_and_not1_b32 vcc_lo, exec_lo, s4
	s_clause 0x1
	global_store_b64 v[11:12], v[6:7], off
	global_store_b64 v[4:5], v[9:10], off
	s_cbranch_vccnz .LBB8_55
; %bb.60:                               ;   in Loop: Header=BB8_56 Depth=1
	v_lshlrev_b64 v[2:3], 2, v[2:3]
	s_lshl_b64 s[6:7], s[2:3], 2
	s_delay_alu instid0(SALU_CYCLE_1) | instskip(SKIP_1) | instid1(VALU_DEP_3)
	v_add_co_u32 v4, vcc_lo, v15, s6
	v_add_co_ci_u32_e32 v5, vcc_lo, s7, v16, vcc_lo
	v_add_co_u32 v2, vcc_lo, v30, v2
	s_delay_alu instid0(VALU_DEP_4)
	v_add_co_ci_u32_e32 v3, vcc_lo, v31, v3, vcc_lo
	s_clause 0x1
	global_load_b32 v6, v[4:5], off
	global_load_b32 v7, v[2:3], off
	s_waitcnt vmcnt(1)
	global_store_b32 v[2:3], v6, off
	s_waitcnt vmcnt(0)
	global_store_b32 v[4:5], v7, off
	s_branch .LBB8_55
.LBB8_61:
	s_nop 0
	s_sendmsg sendmsg(MSG_DEALLOC_VGPRS)
	s_endpgm
	.section	.rodata,"a",@progbits
	.p2align	6, 0x0
	.amdhsa_kernel _ZN9rocsolver6v33100L22stebz_synthesis_kernelIdPdEEv15rocblas_erange_15rocblas_eorder_iiiT0_iiPiS6_PT_lS6_lS6_liS6_S8_S8_S8_S8_S6_S7_
		.amdhsa_group_segment_fixed_size 0
		.amdhsa_private_segment_fixed_size 0
		.amdhsa_kernarg_size 424
		.amdhsa_user_sgpr_count 15
		.amdhsa_user_sgpr_dispatch_ptr 0
		.amdhsa_user_sgpr_queue_ptr 0
		.amdhsa_user_sgpr_kernarg_segment_ptr 1
		.amdhsa_user_sgpr_dispatch_id 0
		.amdhsa_user_sgpr_private_segment_size 0
		.amdhsa_wavefront_size32 1
		.amdhsa_uses_dynamic_stack 0
		.amdhsa_enable_private_segment 0
		.amdhsa_system_sgpr_workgroup_id_x 1
		.amdhsa_system_sgpr_workgroup_id_y 0
		.amdhsa_system_sgpr_workgroup_id_z 0
		.amdhsa_system_sgpr_workgroup_info 0
		.amdhsa_system_vgpr_workitem_id 0
		.amdhsa_next_free_vgpr 51
		.amdhsa_next_free_sgpr 34
		.amdhsa_reserve_vcc 1
		.amdhsa_float_round_mode_32 0
		.amdhsa_float_round_mode_16_64 0
		.amdhsa_float_denorm_mode_32 3
		.amdhsa_float_denorm_mode_16_64 3
		.amdhsa_dx10_clamp 1
		.amdhsa_ieee_mode 1
		.amdhsa_fp16_overflow 0
		.amdhsa_workgroup_processor_mode 1
		.amdhsa_memory_ordered 1
		.amdhsa_forward_progress 0
		.amdhsa_shared_vgpr_count 0
		.amdhsa_exception_fp_ieee_invalid_op 0
		.amdhsa_exception_fp_denorm_src 0
		.amdhsa_exception_fp_ieee_div_zero 0
		.amdhsa_exception_fp_ieee_overflow 0
		.amdhsa_exception_fp_ieee_underflow 0
		.amdhsa_exception_fp_ieee_inexact 0
		.amdhsa_exception_int_div_zero 0
	.end_amdhsa_kernel
	.section	.text._ZN9rocsolver6v33100L22stebz_synthesis_kernelIdPdEEv15rocblas_erange_15rocblas_eorder_iiiT0_iiPiS6_PT_lS6_lS6_liS6_S8_S8_S8_S8_S6_S7_,"axG",@progbits,_ZN9rocsolver6v33100L22stebz_synthesis_kernelIdPdEEv15rocblas_erange_15rocblas_eorder_iiiT0_iiPiS6_PT_lS6_lS6_liS6_S8_S8_S8_S8_S6_S7_,comdat
.Lfunc_end8:
	.size	_ZN9rocsolver6v33100L22stebz_synthesis_kernelIdPdEEv15rocblas_erange_15rocblas_eorder_iiiT0_iiPiS6_PT_lS6_lS6_liS6_S8_S8_S8_S8_S6_S7_, .Lfunc_end8-_ZN9rocsolver6v33100L22stebz_synthesis_kernelIdPdEEv15rocblas_erange_15rocblas_eorder_iiiT0_iiPiS6_PT_lS6_lS6_liS6_S8_S8_S8_S8_S6_S7_
                                        ; -- End function
	.section	.AMDGPU.csdata,"",@progbits
; Kernel info:
; codeLenInByte = 3468
; NumSgprs: 36
; NumVgprs: 51
; ScratchSize: 0
; MemoryBound: 0
; FloatMode: 240
; IeeeMode: 1
; LDSByteSize: 0 bytes/workgroup (compile time only)
; SGPRBlocks: 4
; VGPRBlocks: 6
; NumSGPRsForWavesPerEU: 36
; NumVGPRsForWavesPerEU: 51
; Occupancy: 16
; WaveLimiterHint : 1
; COMPUTE_PGM_RSRC2:SCRATCH_EN: 0
; COMPUTE_PGM_RSRC2:USER_SGPR: 15
; COMPUTE_PGM_RSRC2:TRAP_HANDLER: 0
; COMPUTE_PGM_RSRC2:TGID_X_EN: 1
; COMPUTE_PGM_RSRC2:TGID_Y_EN: 0
; COMPUTE_PGM_RSRC2:TGID_Z_EN: 0
; COMPUTE_PGM_RSRC2:TIDIG_COMP_CNT: 0
	.text
	.p2alignl 7, 3214868480
	.fill 96, 4, 3214868480
	.type	__hip_cuid_285ddfdb5fffeccf,@object ; @__hip_cuid_285ddfdb5fffeccf
	.section	.bss,"aw",@nobits
	.globl	__hip_cuid_285ddfdb5fffeccf
__hip_cuid_285ddfdb5fffeccf:
	.byte	0                               ; 0x0
	.size	__hip_cuid_285ddfdb5fffeccf, 1

	.ident	"AMD clang version 19.0.0git (https://github.com/RadeonOpenCompute/llvm-project roc-6.4.0 25133 c7fe45cf4b819c5991fe208aaa96edf142730f1d)"
	.section	".note.GNU-stack","",@progbits
	.addrsig
	.addrsig_sym __hip_cuid_285ddfdb5fffeccf
	.amdgpu_metadata
---
amdhsa.kernels:
  - .args:
      - .address_space:  global
        .offset:         0
        .size:           8
        .value_kind:     global_buffer
      - .offset:         8
        .size:           4
        .value_kind:     by_value
      - .offset:         12
        .size:           4
        .value_kind:     by_value
      - .offset:         16
        .size:           4
        .value_kind:     by_value
      - .offset:         24
        .size:           4
        .value_kind:     hidden_block_count_x
      - .offset:         28
        .size:           4
        .value_kind:     hidden_block_count_y
      - .offset:         32
        .size:           4
        .value_kind:     hidden_block_count_z
      - .offset:         36
        .size:           2
        .value_kind:     hidden_group_size_x
      - .offset:         38
        .size:           2
        .value_kind:     hidden_group_size_y
      - .offset:         40
        .size:           2
        .value_kind:     hidden_group_size_z
      - .offset:         42
        .size:           2
        .value_kind:     hidden_remainder_x
      - .offset:         44
        .size:           2
        .value_kind:     hidden_remainder_y
      - .offset:         46
        .size:           2
        .value_kind:     hidden_remainder_z
      - .offset:         64
        .size:           8
        .value_kind:     hidden_global_offset_x
      - .offset:         72
        .size:           8
        .value_kind:     hidden_global_offset_y
      - .offset:         80
        .size:           8
        .value_kind:     hidden_global_offset_z
      - .offset:         88
        .size:           2
        .value_kind:     hidden_grid_dims
    .group_segment_fixed_size: 0
    .kernarg_segment_align: 8
    .kernarg_segment_size: 280
    .language:       OpenCL C
    .language_version:
      - 2
      - 0
    .max_flat_workgroup_size: 1024
    .name:           _ZN9rocsolver6v33100L10reset_infoIiiiEEvPT_T0_T1_S4_
    .private_segment_fixed_size: 0
    .sgpr_count:     18
    .sgpr_spill_count: 0
    .symbol:         _ZN9rocsolver6v33100L10reset_infoIiiiEEvPT_T0_T1_S4_.kd
    .uniform_work_group_size: 1
    .uses_dynamic_stack: false
    .vgpr_count:     6
    .vgpr_spill_count: 0
    .wavefront_size: 32
    .workgroup_processor_mode: 1
  - .args:
      - .offset:         0
        .size:           4
        .value_kind:     by_value
      - .offset:         4
        .size:           4
        .value_kind:     by_value
      - .offset:         8
        .size:           4
        .value_kind:     by_value
      - .address_space:  global
        .offset:         16
        .size:           8
        .value_kind:     global_buffer
      - .offset:         24
        .size:           4
        .value_kind:     by_value
      - .offset:         32
        .size:           8
        .value_kind:     by_value
      - .address_space:  global
        .offset:         40
        .size:           8
        .value_kind:     global_buffer
      - .address_space:  global
        .offset:         48
        .size:           8
        .value_kind:     global_buffer
      - .address_space:  global
        .offset:         56
        .size:           8
        .value_kind:     global_buffer
      - .offset:         64
        .size:           8
        .value_kind:     by_value
      - .address_space:  global
        .offset:         72
        .size:           8
        .value_kind:     global_buffer
      - .offset:         80
        .size:           8
        .value_kind:     by_value
      - .address_space:  global
        .offset:         88
        .size:           8
        .value_kind:     global_buffer
      - .offset:         96
        .size:           8
        .value_kind:     by_value
      - .offset:         104
        .size:           4
        .value_kind:     by_value
      - .offset:         112
        .size:           4
        .value_kind:     hidden_block_count_x
      - .offset:         116
        .size:           4
        .value_kind:     hidden_block_count_y
      - .offset:         120
        .size:           4
        .value_kind:     hidden_block_count_z
      - .offset:         124
        .size:           2
        .value_kind:     hidden_group_size_x
      - .offset:         126
        .size:           2
        .value_kind:     hidden_group_size_y
      - .offset:         128
        .size:           2
        .value_kind:     hidden_group_size_z
      - .offset:         130
        .size:           2
        .value_kind:     hidden_remainder_x
      - .offset:         132
        .size:           2
        .value_kind:     hidden_remainder_y
      - .offset:         134
        .size:           2
        .value_kind:     hidden_remainder_z
      - .offset:         152
        .size:           8
        .value_kind:     hidden_global_offset_x
      - .offset:         160
        .size:           8
        .value_kind:     hidden_global_offset_y
      - .offset:         168
        .size:           8
        .value_kind:     hidden_global_offset_z
      - .offset:         176
        .size:           2
        .value_kind:     hidden_grid_dims
    .group_segment_fixed_size: 0
    .kernarg_segment_align: 8
    .kernarg_segment_size: 368
    .language:       OpenCL C
    .language_version:
      - 2
      - 0
    .max_flat_workgroup_size: 1024
    .name:           _ZN9rocsolver6v33100L18stebz_case1_kernelIfPfEEv15rocblas_erange_T_S4_T0_ilPiS6_PS4_lS6_lS6_li
    .private_segment_fixed_size: 0
    .sgpr_count:     24
    .sgpr_spill_count: 0
    .symbol:         _ZN9rocsolver6v33100L18stebz_case1_kernelIfPfEEv15rocblas_erange_T_S4_T0_ilPiS6_PS4_lS6_lS6_li.kd
    .uniform_work_group_size: 1
    .uses_dynamic_stack: false
    .vgpr_count:     12
    .vgpr_spill_count: 0
    .wavefront_size: 32
    .workgroup_processor_mode: 1
  - .args:
      - .offset:         0
        .size:           4
        .value_kind:     by_value
      - .offset:         4
        .size:           4
        .value_kind:     by_value
      - .offset:         8
        .size:           4
        .value_kind:     by_value
      - .offset:         12
        .size:           4
        .value_kind:     by_value
      - .offset:         16
        .size:           4
        .value_kind:     by_value
      - .offset:         20
        .size:           4
        .value_kind:     by_value
      - .address_space:  global
        .offset:         24
        .size:           8
        .value_kind:     global_buffer
      - .offset:         32
        .size:           4
        .value_kind:     by_value
      - .offset:         36
        .size:           4
        .value_kind:     by_value
      - .address_space:  global
        .offset:         40
        .size:           8
        .value_kind:     global_buffer
      - .offset:         48
        .size:           4
        .value_kind:     by_value
      - .offset:         52
        .size:           4
        .value_kind:     by_value
      - .address_space:  global
        .offset:         56
        .size:           8
        .value_kind:     global_buffer
      - .address_space:  global
        .offset:         64
        .size:           8
        .value_kind:     global_buffer
      - .offset:         72
        .size:           8
        .value_kind:     by_value
      - .address_space:  global
        .offset:         80
        .size:           8
        .value_kind:     global_buffer
      - .offset:         88
        .size:           8
        .value_kind:     by_value
      - .address_space:  global
        .offset:         96
        .size:           8
        .value_kind:     global_buffer
      - .address_space:  global
        .offset:         104
        .size:           8
        .value_kind:     global_buffer
      - .address_space:  global
        .offset:         112
        .size:           8
        .value_kind:     global_buffer
      - .address_space:  global
        .offset:         120
        .size:           8
        .value_kind:     global_buffer
      - .address_space:  global
        .offset:         128
        .size:           8
        .value_kind:     global_buffer
      - .address_space:  global
        .offset:         136
        .size:           8
        .value_kind:     global_buffer
      - .offset:         144
        .size:           4
        .value_kind:     by_value
      - .offset:         148
        .size:           4
        .value_kind:     by_value
    .group_segment_fixed_size: 2048
    .kernarg_segment_align: 8
    .kernarg_segment_size: 152
    .language:       OpenCL C
    .language_version:
      - 2
      - 0
    .max_flat_workgroup_size: 256
    .name:           _ZN9rocsolver6v33100L22stebz_splitting_kernelIfPfEEv15rocblas_erange_iT_S4_iiT0_iiS5_iiPiPS4_lS6_lS6_S7_S7_S7_S7_S6_S4_S4_
    .private_segment_fixed_size: 0
    .sgpr_count:     54
    .sgpr_spill_count: 0
    .symbol:         _ZN9rocsolver6v33100L22stebz_splitting_kernelIfPfEEv15rocblas_erange_iT_S4_iiT0_iiS5_iiPiPS4_lS6_lS6_S7_S7_S7_S7_S6_S4_S4_.kd
    .uniform_work_group_size: 1
    .uses_dynamic_stack: false
    .vgpr_count:     20
    .vgpr_spill_count: 0
    .wavefront_size: 32
    .workgroup_processor_mode: 1
  - .args:
      - .offset:         0
        .size:           4
        .value_kind:     by_value
      - .offset:         4
        .size:           4
        .value_kind:     by_value
      - .offset:         8
        .size:           4
        .value_kind:     by_value
      - .address_space:  global
        .offset:         16
        .size:           8
        .value_kind:     global_buffer
      - .offset:         24
        .size:           4
        .value_kind:     by_value
      - .offset:         28
        .size:           4
        .value_kind:     by_value
      - .address_space:  global
        .offset:         32
        .size:           8
        .value_kind:     global_buffer
      - .offset:         40
        .size:           4
        .value_kind:     by_value
      - .offset:         44
        .size:           4
        .value_kind:     by_value
      - .address_space:  global
        .offset:         48
        .size:           8
        .value_kind:     global_buffer
      - .address_space:  global
        .offset:         56
        .size:           8
        .value_kind:     global_buffer
      - .offset:         64
        .size:           8
        .value_kind:     by_value
      - .address_space:  global
        .offset:         72
        .size:           8
        .value_kind:     global_buffer
      - .offset:         80
        .size:           8
        .value_kind:     by_value
      - .address_space:  global
        .offset:         88
        .size:           8
        .value_kind:     global_buffer
      - .offset:         96
        .size:           8
        .value_kind:     by_value
      - .address_space:  global
        .offset:         104
        .size:           8
        .value_kind:     global_buffer
      - .address_space:  global
        .offset:         112
        .size:           8
        .value_kind:     global_buffer
      - .address_space:  global
        .offset:         120
        .size:           8
        .value_kind:     global_buffer
      - .address_space:  global
        .offset:         128
        .size:           8
        .value_kind:     global_buffer
      - .address_space:  global
        .offset:         136
        .size:           8
        .value_kind:     global_buffer
      - .address_space:  global
        .offset:         144
        .size:           8
        .value_kind:     global_buffer
      - .address_space:  global
        .offset:         152
        .size:           8
        .value_kind:     global_buffer
      - .offset:         160
        .size:           4
        .value_kind:     by_value
      - .offset:         164
        .size:           4
        .value_kind:     by_value
    .group_segment_fixed_size: 4616
    .kernarg_segment_align: 8
    .kernarg_segment_size: 168
    .language:       OpenCL C
    .language_version:
      - 2
      - 0
    .max_flat_workgroup_size: 128
    .name:           _ZN9rocsolver6v33100L22stebz_bisection_kernelIfPfEEv15rocblas_erange_iT_T0_iiS5_iiPiPS4_lS6_lS6_lS6_S6_S7_S7_S7_S7_S6_S4_S4_
    .private_segment_fixed_size: 0
    .sgpr_count:     71
    .sgpr_spill_count: 0
    .symbol:         _ZN9rocsolver6v33100L22stebz_bisection_kernelIfPfEEv15rocblas_erange_iT_T0_iiS5_iiPiPS4_lS6_lS6_lS6_S6_S7_S7_S7_S7_S6_S4_S4_.kd
    .uniform_work_group_size: 1
    .uses_dynamic_stack: false
    .vgpr_count:     33
    .vgpr_spill_count: 0
    .wavefront_size: 32
    .workgroup_processor_mode: 1
  - .args:
      - .offset:         0
        .size:           4
        .value_kind:     by_value
      - .offset:         4
        .size:           4
        .value_kind:     by_value
      - .offset:         8
        .size:           4
        .value_kind:     by_value
      - .offset:         12
        .size:           4
        .value_kind:     by_value
      - .offset:         16
        .size:           4
        .value_kind:     by_value
      - .address_space:  global
        .offset:         24
        .size:           8
        .value_kind:     global_buffer
      - .offset:         32
        .size:           4
        .value_kind:     by_value
      - .offset:         36
        .size:           4
        .value_kind:     by_value
      - .address_space:  global
        .offset:         40
        .size:           8
        .value_kind:     global_buffer
      - .address_space:  global
        .offset:         48
        .size:           8
        .value_kind:     global_buffer
      - .address_space:  global
        .offset:         56
        .size:           8
        .value_kind:     global_buffer
      - .offset:         64
        .size:           8
        .value_kind:     by_value
      - .address_space:  global
        .offset:         72
        .size:           8
        .value_kind:     global_buffer
      - .offset:         80
        .size:           8
        .value_kind:     by_value
      - .address_space:  global
        .offset:         88
        .size:           8
        .value_kind:     global_buffer
      - .offset:         96
        .size:           8
        .value_kind:     by_value
      - .offset:         104
        .size:           4
        .value_kind:     by_value
      - .address_space:  global
        .offset:         112
        .size:           8
        .value_kind:     global_buffer
      - .address_space:  global
        .offset:         120
        .size:           8
        .value_kind:     global_buffer
      - .address_space:  global
        .offset:         128
        .size:           8
        .value_kind:     global_buffer
      - .address_space:  global
        .offset:         136
        .size:           8
        .value_kind:     global_buffer
      - .address_space:  global
        .offset:         144
        .size:           8
        .value_kind:     global_buffer
      - .address_space:  global
        .offset:         152
        .size:           8
        .value_kind:     global_buffer
      - .offset:         160
        .size:           4
        .value_kind:     by_value
      - .offset:         168
        .size:           4
        .value_kind:     hidden_block_count_x
      - .offset:         172
        .size:           4
        .value_kind:     hidden_block_count_y
      - .offset:         176
        .size:           4
        .value_kind:     hidden_block_count_z
      - .offset:         180
        .size:           2
        .value_kind:     hidden_group_size_x
      - .offset:         182
        .size:           2
        .value_kind:     hidden_group_size_y
      - .offset:         184
        .size:           2
        .value_kind:     hidden_group_size_z
      - .offset:         186
        .size:           2
        .value_kind:     hidden_remainder_x
      - .offset:         188
        .size:           2
        .value_kind:     hidden_remainder_y
      - .offset:         190
        .size:           2
        .value_kind:     hidden_remainder_z
      - .offset:         208
        .size:           8
        .value_kind:     hidden_global_offset_x
      - .offset:         216
        .size:           8
        .value_kind:     hidden_global_offset_y
      - .offset:         224
        .size:           8
        .value_kind:     hidden_global_offset_z
      - .offset:         232
        .size:           2
        .value_kind:     hidden_grid_dims
    .group_segment_fixed_size: 0
    .kernarg_segment_align: 8
    .kernarg_segment_size: 424
    .language:       OpenCL C
    .language_version:
      - 2
      - 0
    .max_flat_workgroup_size: 1024
    .name:           _ZN9rocsolver6v33100L22stebz_synthesis_kernelIfPfEEv15rocblas_erange_15rocblas_eorder_iiiT0_iiPiS6_PT_lS6_lS6_liS6_S8_S8_S8_S8_S6_S7_
    .private_segment_fixed_size: 0
    .sgpr_count:     36
    .sgpr_spill_count: 0
    .symbol:         _ZN9rocsolver6v33100L22stebz_synthesis_kernelIfPfEEv15rocblas_erange_15rocblas_eorder_iiiT0_iiPiS6_PT_lS6_lS6_liS6_S8_S8_S8_S8_S6_S7_.kd
    .uniform_work_group_size: 1
    .uses_dynamic_stack: false
    .vgpr_count:     42
    .vgpr_spill_count: 0
    .wavefront_size: 32
    .workgroup_processor_mode: 1
  - .args:
      - .offset:         0
        .size:           4
        .value_kind:     by_value
      - .offset:         8
        .size:           8
        .value_kind:     by_value
      - .offset:         16
        .size:           8
        .value_kind:     by_value
      - .address_space:  global
        .offset:         24
        .size:           8
        .value_kind:     global_buffer
      - .offset:         32
        .size:           4
        .value_kind:     by_value
      - .offset:         40
        .size:           8
        .value_kind:     by_value
      - .address_space:  global
        .offset:         48
        .size:           8
        .value_kind:     global_buffer
      - .address_space:  global
        .offset:         56
        .size:           8
        .value_kind:     global_buffer
      - .address_space:  global
        .offset:         64
        .size:           8
        .value_kind:     global_buffer
      - .offset:         72
        .size:           8
        .value_kind:     by_value
      - .address_space:  global
        .offset:         80
        .size:           8
        .value_kind:     global_buffer
      - .offset:         88
        .size:           8
        .value_kind:     by_value
      - .address_space:  global
        .offset:         96
        .size:           8
        .value_kind:     global_buffer
      - .offset:         104
        .size:           8
        .value_kind:     by_value
      - .offset:         112
        .size:           4
        .value_kind:     by_value
      - .offset:         120
        .size:           4
        .value_kind:     hidden_block_count_x
      - .offset:         124
        .size:           4
        .value_kind:     hidden_block_count_y
      - .offset:         128
        .size:           4
        .value_kind:     hidden_block_count_z
      - .offset:         132
        .size:           2
        .value_kind:     hidden_group_size_x
      - .offset:         134
        .size:           2
        .value_kind:     hidden_group_size_y
      - .offset:         136
        .size:           2
        .value_kind:     hidden_group_size_z
      - .offset:         138
        .size:           2
        .value_kind:     hidden_remainder_x
      - .offset:         140
        .size:           2
        .value_kind:     hidden_remainder_y
      - .offset:         142
        .size:           2
        .value_kind:     hidden_remainder_z
      - .offset:         160
        .size:           8
        .value_kind:     hidden_global_offset_x
      - .offset:         168
        .size:           8
        .value_kind:     hidden_global_offset_y
      - .offset:         176
        .size:           8
        .value_kind:     hidden_global_offset_z
      - .offset:         184
        .size:           2
        .value_kind:     hidden_grid_dims
    .group_segment_fixed_size: 0
    .kernarg_segment_align: 8
    .kernarg_segment_size: 376
    .language:       OpenCL C
    .language_version:
      - 2
      - 0
    .max_flat_workgroup_size: 1024
    .name:           _ZN9rocsolver6v33100L18stebz_case1_kernelIdPdEEv15rocblas_erange_T_S4_T0_ilPiS6_PS4_lS6_lS6_li
    .private_segment_fixed_size: 0
    .sgpr_count:     26
    .sgpr_spill_count: 0
    .symbol:         _ZN9rocsolver6v33100L18stebz_case1_kernelIdPdEEv15rocblas_erange_T_S4_T0_ilPiS6_PS4_lS6_lS6_li.kd
    .uniform_work_group_size: 1
    .uses_dynamic_stack: false
    .vgpr_count:     13
    .vgpr_spill_count: 0
    .wavefront_size: 32
    .workgroup_processor_mode: 1
  - .args:
      - .offset:         0
        .size:           4
        .value_kind:     by_value
      - .offset:         4
        .size:           4
        .value_kind:     by_value
      - .offset:         8
        .size:           8
        .value_kind:     by_value
      - .offset:         16
        .size:           8
        .value_kind:     by_value
      - .offset:         24
        .size:           4
        .value_kind:     by_value
      - .offset:         28
        .size:           4
        .value_kind:     by_value
      - .address_space:  global
        .offset:         32
        .size:           8
        .value_kind:     global_buffer
      - .offset:         40
        .size:           4
        .value_kind:     by_value
      - .offset:         44
        .size:           4
        .value_kind:     by_value
      - .address_space:  global
        .offset:         48
        .size:           8
        .value_kind:     global_buffer
      - .offset:         56
        .size:           4
        .value_kind:     by_value
      - .offset:         60
        .size:           4
        .value_kind:     by_value
      - .address_space:  global
        .offset:         64
        .size:           8
        .value_kind:     global_buffer
      - .address_space:  global
        .offset:         72
        .size:           8
        .value_kind:     global_buffer
      - .offset:         80
        .size:           8
        .value_kind:     by_value
      - .address_space:  global
        .offset:         88
        .size:           8
        .value_kind:     global_buffer
      - .offset:         96
        .size:           8
        .value_kind:     by_value
      - .address_space:  global
        .offset:         104
        .size:           8
        .value_kind:     global_buffer
      - .address_space:  global
        .offset:         112
        .size:           8
        .value_kind:     global_buffer
      - .address_space:  global
        .offset:         120
        .size:           8
        .value_kind:     global_buffer
      - .address_space:  global
        .offset:         128
        .size:           8
        .value_kind:     global_buffer
      - .address_space:  global
        .offset:         136
        .size:           8
        .value_kind:     global_buffer
      - .address_space:  global
        .offset:         144
        .size:           8
        .value_kind:     global_buffer
      - .offset:         152
        .size:           8
        .value_kind:     by_value
      - .offset:         160
        .size:           8
        .value_kind:     by_value
    .group_segment_fixed_size: 3072
    .kernarg_segment_align: 8
    .kernarg_segment_size: 168
    .language:       OpenCL C
    .language_version:
      - 2
      - 0
    .max_flat_workgroup_size: 256
    .name:           _ZN9rocsolver6v33100L22stebz_splitting_kernelIdPdEEv15rocblas_erange_iT_S4_iiT0_iiS5_iiPiPS4_lS6_lS6_S7_S7_S7_S7_S6_S4_S4_
    .private_segment_fixed_size: 0
    .sgpr_count:     58
    .sgpr_spill_count: 0
    .symbol:         _ZN9rocsolver6v33100L22stebz_splitting_kernelIdPdEEv15rocblas_erange_iT_S4_iiT0_iiS5_iiPiPS4_lS6_lS6_S7_S7_S7_S7_S6_S4_S4_.kd
    .uniform_work_group_size: 1
    .uses_dynamic_stack: false
    .vgpr_count:     26
    .vgpr_spill_count: 0
    .wavefront_size: 32
    .workgroup_processor_mode: 1
  - .args:
      - .offset:         0
        .size:           4
        .value_kind:     by_value
      - .offset:         4
        .size:           4
        .value_kind:     by_value
      - .offset:         8
        .size:           8
        .value_kind:     by_value
      - .address_space:  global
        .offset:         16
        .size:           8
        .value_kind:     global_buffer
      - .offset:         24
        .size:           4
        .value_kind:     by_value
      - .offset:         28
        .size:           4
        .value_kind:     by_value
      - .address_space:  global
        .offset:         32
        .size:           8
        .value_kind:     global_buffer
      - .offset:         40
        .size:           4
        .value_kind:     by_value
      - .offset:         44
        .size:           4
        .value_kind:     by_value
      - .address_space:  global
        .offset:         48
        .size:           8
        .value_kind:     global_buffer
      - .address_space:  global
        .offset:         56
        .size:           8
        .value_kind:     global_buffer
      - .offset:         64
        .size:           8
        .value_kind:     by_value
      - .address_space:  global
        .offset:         72
        .size:           8
        .value_kind:     global_buffer
      - .offset:         80
        .size:           8
        .value_kind:     by_value
      - .address_space:  global
        .offset:         88
        .size:           8
        .value_kind:     global_buffer
      - .offset:         96
        .size:           8
        .value_kind:     by_value
      - .address_space:  global
        .offset:         104
        .size:           8
        .value_kind:     global_buffer
      - .address_space:  global
        .offset:         112
        .size:           8
        .value_kind:     global_buffer
      - .address_space:  global
        .offset:         120
        .size:           8
        .value_kind:     global_buffer
      - .address_space:  global
        .offset:         128
        .size:           8
        .value_kind:     global_buffer
      - .address_space:  global
        .offset:         136
        .size:           8
        .value_kind:     global_buffer
      - .address_space:  global
        .offset:         144
        .size:           8
        .value_kind:     global_buffer
      - .address_space:  global
        .offset:         152
        .size:           8
        .value_kind:     global_buffer
      - .offset:         160
        .size:           8
        .value_kind:     by_value
      - .offset:         168
        .size:           8
        .value_kind:     by_value
    .group_segment_fixed_size: 6664
    .kernarg_segment_align: 8
    .kernarg_segment_size: 176
    .language:       OpenCL C
    .language_version:
      - 2
      - 0
    .max_flat_workgroup_size: 128
    .name:           _ZN9rocsolver6v33100L22stebz_bisection_kernelIdPdEEv15rocblas_erange_iT_T0_iiS5_iiPiPS4_lS6_lS6_lS6_S6_S7_S7_S7_S7_S6_S4_S4_
    .private_segment_fixed_size: 0
    .sgpr_count:     93
    .sgpr_spill_count: 0
    .symbol:         _ZN9rocsolver6v33100L22stebz_bisection_kernelIdPdEEv15rocblas_erange_iT_T0_iiS5_iiPiPS4_lS6_lS6_lS6_S6_S7_S7_S7_S7_S6_S4_S4_.kd
    .uniform_work_group_size: 1
    .uses_dynamic_stack: false
    .vgpr_count:     46
    .vgpr_spill_count: 0
    .wavefront_size: 32
    .workgroup_processor_mode: 1
  - .args:
      - .offset:         0
        .size:           4
        .value_kind:     by_value
      - .offset:         4
        .size:           4
        .value_kind:     by_value
      - .offset:         8
        .size:           4
        .value_kind:     by_value
      - .offset:         12
        .size:           4
        .value_kind:     by_value
      - .offset:         16
        .size:           4
        .value_kind:     by_value
      - .address_space:  global
        .offset:         24
        .size:           8
        .value_kind:     global_buffer
      - .offset:         32
        .size:           4
        .value_kind:     by_value
      - .offset:         36
        .size:           4
        .value_kind:     by_value
      - .address_space:  global
        .offset:         40
        .size:           8
        .value_kind:     global_buffer
      - .address_space:  global
        .offset:         48
        .size:           8
        .value_kind:     global_buffer
      - .address_space:  global
        .offset:         56
        .size:           8
        .value_kind:     global_buffer
      - .offset:         64
        .size:           8
        .value_kind:     by_value
      - .address_space:  global
        .offset:         72
        .size:           8
        .value_kind:     global_buffer
      - .offset:         80
        .size:           8
        .value_kind:     by_value
      - .address_space:  global
        .offset:         88
        .size:           8
        .value_kind:     global_buffer
      - .offset:         96
        .size:           8
        .value_kind:     by_value
      - .offset:         104
        .size:           4
        .value_kind:     by_value
      - .address_space:  global
        .offset:         112
        .size:           8
        .value_kind:     global_buffer
      - .address_space:  global
        .offset:         120
        .size:           8
        .value_kind:     global_buffer
      - .address_space:  global
        .offset:         128
        .size:           8
        .value_kind:     global_buffer
      - .address_space:  global
        .offset:         136
        .size:           8
        .value_kind:     global_buffer
      - .address_space:  global
        .offset:         144
        .size:           8
        .value_kind:     global_buffer
      - .address_space:  global
        .offset:         152
        .size:           8
        .value_kind:     global_buffer
      - .offset:         160
        .size:           8
        .value_kind:     by_value
      - .offset:         168
        .size:           4
        .value_kind:     hidden_block_count_x
      - .offset:         172
        .size:           4
        .value_kind:     hidden_block_count_y
      - .offset:         176
        .size:           4
        .value_kind:     hidden_block_count_z
      - .offset:         180
        .size:           2
        .value_kind:     hidden_group_size_x
      - .offset:         182
        .size:           2
        .value_kind:     hidden_group_size_y
      - .offset:         184
        .size:           2
        .value_kind:     hidden_group_size_z
      - .offset:         186
        .size:           2
        .value_kind:     hidden_remainder_x
      - .offset:         188
        .size:           2
        .value_kind:     hidden_remainder_y
      - .offset:         190
        .size:           2
        .value_kind:     hidden_remainder_z
      - .offset:         208
        .size:           8
        .value_kind:     hidden_global_offset_x
      - .offset:         216
        .size:           8
        .value_kind:     hidden_global_offset_y
      - .offset:         224
        .size:           8
        .value_kind:     hidden_global_offset_z
      - .offset:         232
        .size:           2
        .value_kind:     hidden_grid_dims
    .group_segment_fixed_size: 0
    .kernarg_segment_align: 8
    .kernarg_segment_size: 424
    .language:       OpenCL C
    .language_version:
      - 2
      - 0
    .max_flat_workgroup_size: 1024
    .name:           _ZN9rocsolver6v33100L22stebz_synthesis_kernelIdPdEEv15rocblas_erange_15rocblas_eorder_iiiT0_iiPiS6_PT_lS6_lS6_liS6_S8_S8_S8_S8_S6_S7_
    .private_segment_fixed_size: 0
    .sgpr_count:     36
    .sgpr_spill_count: 0
    .symbol:         _ZN9rocsolver6v33100L22stebz_synthesis_kernelIdPdEEv15rocblas_erange_15rocblas_eorder_iiiT0_iiPiS6_PT_lS6_lS6_liS6_S8_S8_S8_S8_S6_S7_.kd
    .uniform_work_group_size: 1
    .uses_dynamic_stack: false
    .vgpr_count:     51
    .vgpr_spill_count: 0
    .wavefront_size: 32
    .workgroup_processor_mode: 1
amdhsa.target:   amdgcn-amd-amdhsa--gfx1100
amdhsa.version:
  - 1
  - 2
...

	.end_amdgpu_metadata
